;; amdgpu-corpus repo=zjin-lcf/HeCBench kind=compiled arch=gfx950 opt=O3
	.amdgcn_target "amdgcn-amd-amdhsa--gfx950"
	.amdhsa_code_object_version 6
	.section	.text._Z6kalmanILi8EEvPKdiS1_S1_S1_S1_S1_bS1_iPdS2_S2_iiS2_bS2_,"axG",@progbits,_Z6kalmanILi8EEvPKdiS1_S1_S1_S1_S1_bS1_iPdS2_S2_iiS2_bS2_,comdat
	.protected	_Z6kalmanILi8EEvPKdiS1_S1_S1_S1_S1_bS1_iPdS2_S2_iiS2_bS2_ ; -- Begin function _Z6kalmanILi8EEvPKdiS1_S1_S1_S1_S1_bS1_iPdS2_S2_iiS2_bS2_
	.globl	_Z6kalmanILi8EEvPKdiS1_S1_S1_S1_S1_bS1_iPdS2_S2_iiS2_bS2_
	.p2align	8
	.type	_Z6kalmanILi8EEvPKdiS1_S1_S1_S1_S1_bS1_iPdS2_S2_iiS2_bS2_,@function
_Z6kalmanILi8EEvPKdiS1_S1_S1_S1_S1_bS1_iPdS2_S2_iiS2_bS2_: ; @_Z6kalmanILi8EEvPKdiS1_S1_S1_S1_S1_bS1_iPdS2_S2_iiS2_bS2_
; %bb.0:
	s_load_dword s3, s[0:1], 0x94
	s_load_dword s4, s[0:1], 0x48
	s_waitcnt lgkmcnt(0)
	s_and_b32 s3, s3, 0xffff
	s_mul_i32 s2, s2, s3
	v_add_u32_e32 v2, s2, v0
	v_cmp_gt_i32_e32 vcc, s4, v2
	s_and_saveexec_b64 s[2:3], vcc
	s_cbranch_execz .LBB0_49
; %bb.1:
	s_load_dwordx8 s[4:11], s[0:1], 0x10
	s_load_dwordx2 s[2:3], s[0:1], 0x30
	s_load_dwordx2 s[12:13], s[0:1], 0x68
	v_lshlrev_b32_e32 v0, 6, v2
	v_ashrrev_i32_e32 v1, 31, v0
	v_lshlrev_b64 v[0:1], 3, v[0:1]
	s_waitcnt lgkmcnt(0)
	v_lshl_add_u64 v[6:7], s[8:9], 0, v[0:1]
	v_mov_b32_e32 v12, v2
	global_load_dwordx4 v[2:5], v[6:7], off offset:48
	global_load_dwordx4 v[8:11], v[6:7], off offset:112
	v_mov_b32_e32 v22, v12
	s_cmp_gt_i32 s12, 0
	s_waitcnt vmcnt(1)
	scratch_store_dwordx4 off, v[2:5], off offset:2016 ; 16-byte Folded Spill
	global_load_dwordx4 v[2:5], v[6:7], off offset:32
	s_waitcnt vmcnt(2)
	scratch_store_dwordx4 off, v[8:11], off offset:2080 ; 16-byte Folded Spill
	global_load_dwordx4 v[8:11], v[6:7], off offset:96
	;; [unrolled: 3-line block ×4, first 2 shown]
	s_waitcnt vmcnt(2)
	scratch_store_dwordx4 off, v[2:5], off offset:2048 ; 16-byte Folded Spill
	global_load_dwordx4 v[2:5], v[6:7], off
	s_waitcnt vmcnt(2)
	scratch_store_dwordx4 off, v[8:11], off offset:2112 ; 16-byte Folded Spill
	global_load_dwordx4 v[8:11], v[6:7], off offset:64
	s_waitcnt vmcnt(2)
	scratch_store_dwordx4 off, v[2:5], off offset:2064 ; 16-byte Folded Spill
	s_nop 1
	v_lshl_add_u64 v[2:3], s[4:5], 0, v[0:1]
	v_lshl_add_u64 v[0:1], s[10:11], 0, v[0:1]
	s_waitcnt vmcnt(1)
	scratch_store_dwordx4 off, v[8:11], off offset:2128 ; 16-byte Folded Spill
	global_load_dwordx4 v[8:11], v[6:7], off offset:176
	v_lshlrev_b32_e32 v4, 3, v12
	v_ashrrev_i32_e32 v5, 31, v4
	s_cselect_b64 s[4:5], -1, 0
	s_cmp_lt_i32 s12, 1
	s_waitcnt vmcnt(0)
	scratch_store_dwordx4 off, v[8:11], off offset:2144 ; 16-byte Folded Spill
	global_load_dwordx4 v[8:11], v[6:7], off offset:160
	s_waitcnt vmcnt(0)
	scratch_store_dwordx4 off, v[8:11], off offset:2160 ; 16-byte Folded Spill
	global_load_dwordx4 v[8:11], v[6:7], off offset:144
	;; [unrolled: 3-line block ×12, first 2 shown]
	s_nop 0
	global_load_dwordx4 v[8:11], v[6:7], off offset:352
	s_waitcnt vmcnt(0)
	scratch_store_dwordx4 off, v[8:11], off offset:2352 ; 16-byte Folded Spill
	global_load_dwordx4 v[8:11], v[6:7], off offset:336
	s_waitcnt vmcnt(0)
	scratch_store_dwordx4 off, v[8:11], off offset:2368 ; 16-byte Folded Spill
	;; [unrolled: 3-line block ×7, first 2 shown]
	global_load_dwordx4 v[86:89], v[6:7], off offset:496
	s_nop 0
	global_load_dwordx4 v[8:11], v[6:7], off offset:480
	s_waitcnt vmcnt(0)
	scratch_store_dwordx4 off, v[8:11], off offset:2480 ; 16-byte Folded Spill
	global_load_dwordx4 v[8:11], v[6:7], off offset:464
	s_waitcnt vmcnt(0)
	scratch_store_dwordx4 off, v[8:11], off offset:2496 ; 16-byte Folded Spill
	;; [unrolled: 3-line block ×6, first 2 shown]
	global_load_dwordx4 v[6:9], v[2:3], off
	s_waitcnt vmcnt(0)
	scratch_store_dwordx4 off, v[6:9], off offset:400 ; 16-byte Folded Spill
	global_load_dwordx4 v[6:9], v[2:3], off offset:112
	s_waitcnt vmcnt(0)
	scratch_store_dwordx4 off, v[6:9], off offset:320 ; 16-byte Folded Spill
	global_load_dwordx4 v[6:9], v[2:3], off offset:96
	;; [unrolled: 3-line block ×5, first 2 shown]
	s_nop 0
	global_load_dwordx4 v[6:9], v[2:3], off offset:160
	s_waitcnt vmcnt(0)
	scratch_store_dwordx4 off, v[6:9], off offset:336 ; 16-byte Folded Spill
	global_load_dwordx4 v[6:9], v[2:3], off offset:144
	s_waitcnt vmcnt(0)
	scratch_store_dwordx4 off, v[6:9], off  ; 16-byte Folded Spill
	global_load_dwordx4 v[6:9], v[2:3], off offset:128
	s_waitcnt vmcnt(0)
	scratch_store_dwordx4 off, v[6:9], off offset:416 ; 16-byte Folded Spill
	global_load_dwordx4 v[6:9], v[2:3], off offset:240
	s_waitcnt vmcnt(0)
	scratch_store_dwordx4 off, v[6:9], off offset:64 ; 16-byte Folded Spill
	global_load_dwordx4 v[116:119], v[2:3], off offset:224
	global_load_dwordx4 v[94:97], v[2:3], off offset:208
	s_nop 0
	global_load_dwordx4 v[6:9], v[2:3], off offset:192
	s_waitcnt vmcnt(0)
	scratch_store_dwordx4 off, v[6:9], off offset:192 ; 16-byte Folded Spill
	global_load_dwordx4 v[42:45], v[2:3], off offset:304
	global_load_dwordx4 v[62:65], v[2:3], off offset:288
	;; [unrolled: 1-line block ×6, first 2 shown]
	s_waitcnt vmcnt(0)
	scratch_store_dwordx4 off, v[6:9], off offset:16 ; 16-byte Folded Spill
	global_load_dwordx4 v[70:73], v[2:3], off offset:336
	global_load_dwordx4 v[38:41], v[2:3], off offset:320
	s_nop 0
	global_load_dwordx4 v[6:9], v[2:3], off offset:432
	s_waitcnt vmcnt(0)
	scratch_store_dwordx4 off, v[6:9], off offset:256 ; 16-byte Folded Spill
	global_load_dwordx4 v[6:9], v[2:3], off offset:416
	s_waitcnt vmcnt(0)
	scratch_store_dwordx4 off, v[6:9], off offset:240 ; 16-byte Folded Spill
	;; [unrolled: 3-line block ×6, first 2 shown]
	global_load_dwordx4 v[28:31], v[2:3], off offset:464
	global_load_dwordx4 v[112:115], v[2:3], off offset:448
	s_nop 0
	global_load_dwordx4 v[6:9], v[0:1], off offset:48
	s_waitcnt vmcnt(0)
	scratch_store_dwordx4 off, v[6:9], off offset:960 ; 16-byte Folded Spill
	global_load_dwordx4 v[6:9], v[0:1], off offset:32
	s_waitcnt vmcnt(0)
	scratch_store_dwordx4 off, v[6:9], off offset:848 ; 16-byte Folded Spill
	global_load_dwordx4 v[108:111], v[0:1], off offset:16
	global_load_dwordx4 v[90:93], v[0:1], off
	s_nop 0
	global_load_dwordx4 v[6:9], v[0:1], off offset:112
	s_waitcnt vmcnt(0)
	scratch_store_dwordx4 off, v[6:9], off offset:688 ; 16-byte Folded Spill
	global_load_dwordx4 v[6:9], v[0:1], off offset:96
	s_waitcnt vmcnt(0)
	scratch_store_dwordx4 off, v[6:9], off offset:752 ; 16-byte Folded Spill
	;; [unrolled: 3-line block ×9, first 2 shown]
	global_load_dwordx4 v[24:27], v[0:1], off offset:224
	global_load_dwordx4 v[98:101], v[0:1], off offset:208
	;; [unrolled: 1-line block ×6, first 2 shown]
	s_waitcnt vmcnt(0)
	scratch_store_dwordx4 off, v[6:9], off offset:608 ; 16-byte Folded Spill
	global_load_dwordx4 v[6:9], v[0:1], off offset:256
	s_waitcnt vmcnt(0)
	scratch_store_dwordx4 off, v[6:9], off offset:624 ; 16-byte Folded Spill
	global_load_dwordx4 v[10:13], v[0:1], off offset:368
	global_load_dwordx4 v[14:17], v[0:1], off offset:352
	;; [unrolled: 1-line block ×3, first 2 shown]
	s_nop 0
	global_load_dwordx4 v[6:9], v[0:1], off offset:320
	s_waitcnt vmcnt(0)
	scratch_store_dwordx4 off, v[6:9], off offset:496 ; 16-byte Folded Spill
	global_load_dwordx4 v[6:9], v[0:1], off offset:432
	s_waitcnt vmcnt(0)
	scratch_store_dwordx4 off, v[6:9], off offset:832 ; 16-byte Folded Spill
	;; [unrolled: 3-line block ×6, first 2 shown]
	global_load_dwordx4 v[120:123], v[0:1], off offset:480
	s_nop 0
	global_load_dwordx4 v[6:9], v[0:1], off offset:464
	s_nop 0
	global_load_dwordx4 v[0:3], v[0:1], off offset:448
	s_waitcnt vmcnt(1)
	scratch_store_dwordx4 off, v[6:9], off offset:784 ; 16-byte Folded Spill
	s_waitcnt vmcnt(1)
	scratch_store_dwordx4 off, v[0:3], off offset:704 ; 16-byte Folded Spill
	s_nop 1
	v_mov_b64_e32 v[0:1], 0
	scratch_store_dwordx2 off, v[0:1], off offset:1256 ; 8-byte Folded Spill
	v_lshl_add_u64 v[0:1], v[4:5], 3, s[6:7]
	v_mov_b64_e32 v[2:3], 0
	scratch_store_dwordx2 off, v[2:3], off offset:1264 ; 8-byte Folded Spill
	s_cbranch_scc1 .LBB0_3
; %bb.2:
	global_load_dwordx2 v[2:3], v[0:1], off
	s_waitcnt vmcnt(0)
	scratch_store_dwordx2 off, v[2:3], off offset:1264 ; 8-byte Folded Spill
.LBB0_3:
	v_lshl_add_u64 v[2:3], v[4:5], 3, s[2:3]
	global_load_dwordx2 v[6:7], v[2:3], off
	v_cndmask_b32_e64 v4, 0, 1, s[4:5]
	v_cmp_ne_u32_e64 s[2:3], 1, v4
	s_andn2_b64 vcc, exec, s[4:5]
	s_cbranch_vccnz .LBB0_5
; %bb.4:
	global_load_dwordx2 v[4:5], v[0:1], off offset:8
	s_waitcnt vmcnt(0)
	scratch_store_dwordx2 off, v[4:5], off offset:1256 ; 8-byte Folded Spill
.LBB0_5:
	global_load_dwordx2 v[8:9], v[2:3], off offset:8
	v_mov_b64_e32 v[4:5], 0
	scratch_store_dwordx2 off, v[4:5], off offset:1272 ; 8-byte Folded Spill
	s_and_b64 vcc, exec, s[2:3]
	v_mov_b64_e32 v[4:5], 0
	scratch_store_dwordx4 off, v[10:13], off offset:544 ; 16-byte Folded Spill
	scratch_store_dwordx2 off, v[4:5], off offset:1280 ; 8-byte Folded Spill
	s_cbranch_vccnz .LBB0_7
; %bb.6:
	global_load_dwordx2 v[4:5], v[0:1], off offset:16
	s_waitcnt vmcnt(0)
	scratch_store_dwordx2 off, v[4:5], off offset:1280 ; 8-byte Folded Spill
.LBB0_7:
	global_load_dwordx2 v[10:11], v[2:3], off offset:16
	s_and_b64 vcc, exec, s[2:3]
	s_cbranch_vccnz .LBB0_9
; %bb.8:
	global_load_dwordx2 v[4:5], v[0:1], off offset:24
	s_waitcnt vmcnt(0)
	scratch_store_dwordx2 off, v[4:5], off offset:1272 ; 8-byte Folded Spill
.LBB0_9:
	global_load_dwordx2 v[12:13], v[2:3], off offset:24
	v_mov_b64_e32 v[4:5], 0
	scratch_store_dwordx2 off, v[4:5], off offset:1288 ; 8-byte Folded Spill
	s_and_b64 vcc, exec, s[2:3]
	v_mov_b64_e32 v[4:5], 0
	scratch_store_dwordx4 off, v[14:17], off offset:560 ; 16-byte Folded Spill
	scratch_store_dwordx2 off, v[4:5], off offset:1296 ; 8-byte Folded Spill
	s_cbranch_vccnz .LBB0_11
; %bb.10:
	global_load_dwordx2 v[4:5], v[0:1], off offset:32
	s_waitcnt vmcnt(0)
	scratch_store_dwordx2 off, v[4:5], off offset:1296 ; 8-byte Folded Spill
.LBB0_11:
	global_load_dwordx2 v[14:15], v[2:3], off offset:32
	s_and_b64 vcc, exec, s[2:3]
	;; [unrolled: 21-line block ×3, first 2 shown]
	s_cbranch_vccnz .LBB0_17
; %bb.16:
	global_load_dwordx2 v[0:1], v[0:1], off offset:56
	s_waitcnt vmcnt(0)
	scratch_store_dwordx2 off, v[0:1], off offset:1304 ; 8-byte Folded Spill
.LBB0_17:
	global_load_dwordx2 v[20:21], v[2:3], off offset:56
	s_load_dword s2, s[0:1], 0x38
	v_mov_b32_e32 v2, v22
	v_mov_b64_e32 v[0:1], 0
	v_ashrrev_i32_e32 v3, 31, v2
	scratch_store_dwordx2 off, v[0:1], off offset:2528 ; 8-byte Folded Spill
	s_waitcnt lgkmcnt(0)
	s_bitcmp0_b32 s2, 0
	v_mov_b64_e32 v[0:1], 0
	scratch_store_dwordx2 off, v[0:1], off offset:1600 ; 8-byte Folded Spill
	s_cbranch_scc1 .LBB0_19
; %bb.18:
	s_load_dwordx2 s[2:3], s[0:1], 0x40
	s_waitcnt lgkmcnt(0)
	v_lshl_add_u64 v[0:1], v[2:3], 3, s[2:3]
	global_load_dwordx2 v[0:1], v[0:1], off
	s_waitcnt vmcnt(0)
	scratch_store_dwordx2 off, v[0:1], off offset:1600 ; 8-byte Folded Spill
.LBB0_19:
	scratch_store_dwordx4 off, v[120:123], off offset:768 ; 16-byte Folded Spill
	scratch_store_dwordx4 off, v[24:27], off offset:864 ; 16-byte Folded Spill
	s_load_dword s20, s[0:1], 0x8
	s_load_dwordx2 s[8:9], s[0:1], 0x60
	v_mov_b64_e32 v[22:23], v[58:59]
	v_mov_b64_e32 v[24:25], v[60:61]
	scratch_store_dwordx4 off, v[22:25], off offset:32 ; 16-byte Folded Spill
	scratch_store_dwordx4 off, v[116:119], off offset:384 ; 16-byte Folded Spill
	;; [unrolled: 1-line block ×14, first 2 shown]
	s_waitcnt lgkmcnt(0)
	s_cmp_lt_i32 s20, 1
	s_cbranch_scc1 .LBB0_36
; %bb.20:
	scratch_store_dwordx4 off, v[78:81], off offset:944 ; 16-byte Folded Spill
	scratch_load_dwordx4 v[120:123], off, off offset:688 ; 16-byte Folded Reload
	s_load_dwordx2 s[2:3], s[0:1], 0x0
	s_load_dwordx4 s[4:7], s[0:1], 0x50
	v_mul_lo_u32 v0, v2, s20
	v_ashrrev_i32_e32 v1, 31, v0
	v_lshlrev_b64 v[0:1], 3, v[0:1]
	scratch_store_dwordx2 off, v[2:3], off offset:2584 ; 8-byte Folded Spill
	s_waitcnt lgkmcnt(0)
	v_lshl_add_u64 v[2:3], s[2:3], 0, v[0:1]
	v_lshl_add_u64 v[22:23], s[4:5], 0, v[0:1]
	;; [unrolled: 1-line block ×3, first 2 shown]
	v_mov_b64_e32 v[0:1], 0
	scratch_store_dwordx2 off, v[0:1], off offset:2528 ; 8-byte Folded Spill
	v_mov_b32_e32 v0, 0x6b47b09a
	v_mov_b32_e32 v1, 0x3fc38538
	scratch_store_dwordx2 off, v[0:1], off offset:2536 ; 8-byte Folded Spill
	v_mov_b32_e32 v0, 0xd7f4df2e
	v_mov_b32_e32 v1, 0x3fc7474d
	;; [unrolled: 3-line block ×6, first 2 shown]
	v_mov_b64_e32 v[82:83], v[94:95]
	scratch_store_dwordx2 off, v[0:1], off offset:2576 ; 8-byte Folded Spill
	v_mov_b64_e32 v[84:85], v[96:97]
	scratch_load_dwordx4 v[26:29], off, off offset:704 ; 16-byte Folded Reload
	scratch_load_dwordx4 v[38:41], off, off offset:880 ; 16-byte Folded Reload
	scratch_load_dwordx4 v[42:45], off, off offset:720 ; 16-byte Folded Reload
	scratch_load_dwordx4 v[94:97], off, off offset:896 ; 16-byte Folded Reload
	scratch_load_dwordx4 v[78:81], off, off offset:960 ; 16-byte Folded Reload
	s_cmp_lg_u32 s12, 0
	s_mov_b32 s6, 0x55555555
	s_mov_b32 s10, 0xbf559e2b
	;; [unrolled: 1-line block ×5, first 2 shown]
	s_cselect_b64 s[4:5], -1, 0
	s_mov_b32 s7, 0x3fe55555
	s_mov_b32 s11, 0x3fc3ab76
	;; [unrolled: 1-line block ×4, first 2 shown]
	s_movk_i32 s22, 0x204
	s_lshl_b32 s23, s12, 1
.LBB0_21:                               ; =>This Inner Loop Header: Depth=1
	scratch_store_dwordx2 off, v[2:3], off offset:1608 ; 8-byte Folded Spill
	global_load_dwordx2 v[0:1], v[2:3], off
	scratch_load_dwordx4 v[34:37], off, off offset:496 ; 16-byte Folded Reload
	scratch_load_dwordx4 v[46:49], off, off offset:608 ; 16-byte Folded Reload
	;; [unrolled: 1-line block ×6, first 2 shown]
	v_cndmask_b32_e64 v2, 0, 1, s[4:5]
	v_cmp_ne_u32_e64 s[2:3], 1, v2
	s_andn2_b64 vcc, exec, s[4:5]
	s_cbranch_vccnz .LBB0_34
; %bb.22:                               ;   in Loop: Header=BB0_21 Depth=1
	scratch_load_dwordx2 v[2:3], off, off offset:1264 ; 8-byte Folded Reload
	scratch_load_dwordx2 v[4:5], off, off offset:1256 ; 8-byte Folded Reload
	s_waitcnt vmcnt(1)
	v_fma_f64 v[2:3], -v[6:7], v[2:3], v[0:1]
	s_waitcnt vmcnt(0)
	v_fma_f64 v[2:3], -v[8:9], v[4:5], v[2:3]
	scratch_load_dwordx2 v[4:5], off, off offset:1280 ; 8-byte Folded Reload
	s_waitcnt vmcnt(0)
	v_fma_f64 v[2:3], -v[10:11], v[4:5], v[2:3]
	scratch_load_dwordx2 v[4:5], off, off offset:1272 ; 8-byte Folded Reload
	s_waitcnt vmcnt(0)
	v_fma_f64 v[2:3], -v[12:13], v[4:5], v[2:3]
	scratch_load_dwordx2 v[4:5], off, off offset:1296 ; 8-byte Folded Reload
	s_waitcnt vmcnt(0)
	v_fma_f64 v[2:3], -v[14:15], v[4:5], v[2:3]
	scratch_load_dwordx2 v[4:5], off, off offset:1288 ; 8-byte Folded Reload
	s_waitcnt vmcnt(0)
	v_fma_f64 v[2:3], -v[16:17], v[4:5], v[2:3]
	scratch_load_dwordx2 v[4:5], off, off offset:1312 ; 8-byte Folded Reload
	s_waitcnt vmcnt(0)
	v_fma_f64 v[2:3], -v[18:19], v[4:5], v[2:3]
	scratch_load_dwordx2 v[4:5], off, off offset:1304 ; 8-byte Folded Reload
	s_waitcnt vmcnt(0)
	v_fma_f64 v[2:3], -v[20:21], v[4:5], v[2:3]
	v_mov_b64_e32 v[62:63], v[70:71]
	v_mov_b64_e32 v[64:65], v[72:73]
	s_cbranch_execnz .LBB0_24
.LBB0_23:                               ;   in Loop: Header=BB0_21 Depth=1
	s_waitcnt vmcnt(6)
	v_add_f64 v[2:3], v[0:1], -v[6:7]
.LBB0_24:                               ;   in Loop: Header=BB0_21 Depth=1
	s_waitcnt vmcnt(11)
	scratch_store_dwordx4 off, v[6:9], off offset:1080 ; 16-byte Folded Spill
	s_waitcnt vmcnt(11)
	scratch_store_dwordx4 off, v[10:13], off offset:1096 ; 16-byte Folded Spill
	;; [unrolled: 2-line block ×4, first 2 shown]
	scratch_store_dwordx2 off, v[2:3], off offset:1688 ; 8-byte Folded Spill
	global_store_dwordx2 v[22:23], v[2:3], off
	s_and_b64 vcc, exec, s[2:3]
	v_mov_b64_e32 v[16:17], v[90:91]
	s_cbranch_vccnz .LBB0_26
; %bb.25:                               ;   in Loop: Header=BB0_21 Depth=1
	scratch_load_dwordx2 v[4:5], off, off offset:1264 ; 8-byte Folded Reload
	scratch_load_dwordx2 v[8:9], off, off offset:1280 ; 8-byte Folded Reload
	;; [unrolled: 1-line block ×4, first 2 shown]
	scratch_load_dwordx4 v[70:73], off, off offset:816 ; 16-byte Folded Reload
	scratch_load_dwordx4 v[18:21], off, off offset:800 ; 16-byte Folded Reload
	scratch_load_dwordx2 v[12:13], off, off offset:1296 ; 8-byte Folded Reload
	scratch_load_dwordx2 v[14:15], off, off offset:1304 ; 8-byte Folded Reload
	;; [unrolled: 1-line block ×3, first 2 shown]
	s_waitcnt vmcnt(8)
	v_mul_f64 v[0:1], v[90:91], v[4:5]
	v_fma_f64 v[16:17], v[0:1], v[4:5], 0
	s_waitcnt vmcnt(4)
	v_mul_f64 v[0:1], v[70:71], v[4:5]
	v_fmac_f64_e32 v[16:17], v[0:1], v[2:3]
	s_waitcnt vmcnt(3)
	v_mul_f64 v[0:1], v[18:19], v[4:5]
	scratch_load_dwordx2 v[18:19], off, off offset:1312 ; 8-byte Folded Reload
	v_fmac_f64_e32 v[16:17], v[0:1], v[8:9]
	v_mul_f64 v[0:1], v[104:105], v[4:5]
	v_fmac_f64_e32 v[16:17], v[0:1], v[6:7]
	v_mul_f64 v[0:1], v[74:75], v[4:5]
	s_waitcnt vmcnt(3)
	v_fmac_f64_e32 v[16:17], v[0:1], v[12:13]
	v_mul_f64 v[0:1], v[34:35], v[4:5]
	s_waitcnt vmcnt(1)
	;; [unrolled: 3-line block ×3, first 2 shown]
	v_fmac_f64_e32 v[16:17], v[0:1], v[18:19]
	v_mul_f64 v[0:1], v[26:27], v[4:5]
	v_fmac_f64_e32 v[16:17], v[0:1], v[14:15]
	v_mul_f64 v[0:1], v[92:93], v[2:3]
	;; [unrolled: 2-line block ×6, first 2 shown]
	scratch_load_dwordx4 v[74:77], off, off offset:528 ; 16-byte Folded Reload
	v_fmac_f64_e32 v[16:17], v[0:1], v[12:13]
	v_mul_f64 v[0:1], v[36:37], v[2:3]
	scratch_load_dwordx4 v[34:37], off, off offset:576 ; 16-byte Folded Reload
	scratch_load_dwordx4 v[70:73], off, off offset:784 ; 16-byte Folded Reload
	v_fmac_f64_e32 v[16:17], v[0:1], v[10:11]
	v_mul_f64 v[0:1], v[96:97], v[2:3]
	v_fmac_f64_e32 v[16:17], v[0:1], v[18:19]
	v_mul_f64 v[0:1], v[28:29], v[2:3]
	;; [unrolled: 2-line block ×3, first 2 shown]
	v_fmac_f64_e32 v[16:17], v[0:1], v[4:5]
	s_waitcnt vmcnt(2)
	v_mul_f64 v[0:1], v[74:75], v[8:9]
	v_fmac_f64_e32 v[16:17], v[0:1], v[2:3]
	v_mul_f64 v[0:1], v[86:87], v[8:9]
	v_fmac_f64_e32 v[16:17], v[0:1], v[8:9]
	;; [unrolled: 2-line block ×4, first 2 shown]
	s_waitcnt vmcnt(1)
	v_mul_f64 v[0:1], v[34:35], v[8:9]
	v_fmac_f64_e32 v[16:17], v[0:1], v[10:11]
	v_mul_f64 v[0:1], v[42:43], v[8:9]
	v_fmac_f64_e32 v[16:17], v[0:1], v[18:19]
	s_waitcnt vmcnt(0)
	v_mul_f64 v[0:1], v[70:71], v[8:9]
	v_fmac_f64_e32 v[16:17], v[0:1], v[14:15]
	v_mul_f64 v[0:1], v[110:111], v[6:7]
	v_fmac_f64_e32 v[16:17], v[0:1], v[4:5]
	;; [unrolled: 2-line block ×8, first 2 shown]
	v_mul_f64 v[0:1], v[72:73], v[6:7]
	scratch_load_dwordx4 v[72:75], off, off offset:848 ; 16-byte Folded Reload
	scratch_load_dwordx4 v[48:51], off, off offset:752 ; 16-byte Folded Reload
	;; [unrolled: 1-line block ×3, first 2 shown]
	v_fmac_f64_e32 v[16:17], v[0:1], v[14:15]
	s_waitcnt vmcnt(2)
	v_mul_f64 v[0:1], v[72:73], v[12:13]
	v_fmac_f64_e32 v[16:17], v[0:1], v[4:5]
	s_waitcnt vmcnt(1)
	v_mul_f64 v[0:1], v[48:49], v[12:13]
	scratch_load_dwordx4 v[46:49], off, off offset:560 ; 16-byte Folded Reload
	scratch_load_dwordx4 v[70:73], off, off offset:768 ; 16-byte Folded Reload
	v_fmac_f64_e32 v[16:17], v[0:1], v[2:3]
	v_mul_f64 v[0:1], v[66:67], v[12:13]
	v_fmac_f64_e32 v[16:17], v[0:1], v[8:9]
	s_waitcnt vmcnt(2)
	v_mul_f64 v[0:1], v[34:35], v[12:13]
	v_fmac_f64_e32 v[16:17], v[0:1], v[6:7]
	v_mul_f64 v[0:1], v[52:53], v[12:13]
	v_fmac_f64_e32 v[16:17], v[0:1], v[12:13]
	s_waitcnt vmcnt(1)
	v_mul_f64 v[0:1], v[46:47], v[12:13]
	;; [unrolled: 5-line block ×3, first 2 shown]
	v_fmac_f64_e32 v[16:17], v[0:1], v[14:15]
	v_mul_f64 v[0:1], v[74:75], v[10:11]
	v_fmac_f64_e32 v[16:17], v[0:1], v[4:5]
	v_mul_f64 v[0:1], v[50:51], v[10:11]
	v_fmac_f64_e32 v[16:17], v[0:1], v[2:3]
	v_mul_f64 v[0:1], v[68:69], v[10:11]
	v_fmac_f64_e32 v[16:17], v[0:1], v[8:9]
	v_mul_f64 v[0:1], v[36:37], v[10:11]
	v_fmac_f64_e32 v[16:17], v[0:1], v[6:7]
	v_mul_f64 v[0:1], v[54:55], v[10:11]
	v_fmac_f64_e32 v[16:17], v[0:1], v[12:13]
	v_mul_f64 v[0:1], v[48:49], v[10:11]
	scratch_load_dwordx4 v[48:51], off, off offset:592 ; 16-byte Folded Reload
	v_fmac_f64_e32 v[16:17], v[0:1], v[10:11]
	v_mul_f64 v[0:1], v[40:41], v[10:11]
	v_fmac_f64_e32 v[16:17], v[0:1], v[18:19]
	v_mul_f64 v[0:1], v[72:73], v[10:11]
	;; [unrolled: 2-line block ×3, first 2 shown]
	v_mov_b64_e32 v[66:67], v[120:121]
	v_fmac_f64_e32 v[16:17], v[0:1], v[4:5]
	v_mul_f64 v[0:1], v[66:67], v[18:19]
	v_fmac_f64_e32 v[16:17], v[0:1], v[2:3]
	v_mul_f64 v[0:1], v[56:57], v[18:19]
	scratch_load_dwordx4 v[34:37], off, off offset:944 ; 16-byte Folded Reload
	v_fmac_f64_e32 v[16:17], v[0:1], v[8:9]
	scratch_load_dwordx4 v[70:73], off, off offset:832 ; 16-byte Folded Reload
	v_mov_b64_e32 v[68:69], v[122:123]
	scratch_load_dwordx4 v[74:77], off, off offset:512 ; 16-byte Folded Reload
	s_waitcnt vmcnt(3)
	v_mul_f64 v[0:1], v[48:49], v[18:19]
	scratch_load_dwordx4 v[46:49], off, off offset:544 ; 16-byte Folded Reload
	v_fmac_f64_e32 v[16:17], v[0:1], v[6:7]
	s_waitcnt vmcnt(3)
	v_mul_f64 v[0:1], v[34:35], v[18:19]
	v_fmac_f64_e32 v[16:17], v[0:1], v[12:13]
	s_waitcnt vmcnt(0)
	v_mul_f64 v[0:1], v[46:47], v[18:19]
	v_fmac_f64_e32 v[16:17], v[0:1], v[10:11]
	v_mul_f64 v[0:1], v[70:71], v[18:19]
	v_fmac_f64_e32 v[16:17], v[0:1], v[18:19]
	;; [unrolled: 2-line block ×11, first 2 shown]
.LBB0_26:                               ;   in Loop: Header=BB0_21 Depth=1
	scratch_load_dwordx4 v[0:3], off, off offset:512 ; 16-byte Folded Reload
	s_waitcnt vmcnt(8)
	v_mov_b64_e32 v[66:67], v[78:79]
	v_mov_b64_e32 v[18:19], v[108:109]
	;; [unrolled: 1-line block ×5, first 2 shown]
	s_cmp_lt_i32 s21, s12
	v_mov_b64_e32 v[20:21], v[110:111]
	v_mov_b64_e32 v[32:33], v[114:115]
	;; [unrolled: 1-line block ×3, first 2 shown]
	global_store_dwordx2 v[24:25], v[16:17], off
	scratch_store_dwordx2 off, v[22:23], off offset:1616 ; 8-byte Folded Spill
	scratch_store_dwordx2 off, v[24:25], off offset:1624 ; 8-byte Folded Spill
	scratch_store_dwordx4 off, v[26:29], off offset:704 ; 16-byte Folded Spill
	scratch_store_dwordx4 off, v[38:41], off offset:880 ; 16-byte Folded Spill
	;; [unrolled: 1-line block ×8, first 2 shown]
	s_cbranch_scc1 .LBB0_28
; %bb.27:                               ;   in Loop: Header=BB0_21 Depth=1
	s_waitcnt vmcnt(11)
	v_frexp_mant_f64_e32 v[0:1], v[16:17]
	v_cmp_gt_f64_e32 vcc, s[6:7], v[0:1]
	v_frexp_exp_i32_f64_e32 v2, v[16:17]
	s_nop 0
	v_cndmask_b32_e64 v3, 0, 1, vcc
	v_ldexp_f64 v[0:1], v[0:1], v3
	v_subbrev_co_u32_e32 v14, vcc, 0, v2, vcc
	v_add_f64 v[2:3], v[0:1], 1.0
	v_rcp_f64_e32 v[4:5], v[2:3]
	v_add_f64 v[8:9], v[2:3], -1.0
	v_add_f64 v[6:7], v[0:1], -1.0
	v_add_f64 v[0:1], v[0:1], -v[8:9]
	v_fma_f64 v[8:9], -v[2:3], v[4:5], 1.0
	v_fmac_f64_e32 v[4:5], v[8:9], v[4:5]
	v_fma_f64 v[8:9], -v[2:3], v[4:5], 1.0
	v_fmac_f64_e32 v[4:5], v[8:9], v[4:5]
	v_mul_f64 v[8:9], v[6:7], v[4:5]
	v_mul_f64 v[10:11], v[2:3], v[8:9]
	v_fma_f64 v[2:3], v[8:9], v[2:3], -v[10:11]
	v_fmac_f64_e32 v[2:3], v[8:9], v[0:1]
	v_add_f64 v[0:1], v[10:11], v[2:3]
	v_add_f64 v[12:13], v[6:7], -v[0:1]
	v_add_f64 v[10:11], v[0:1], -v[10:11]
	;; [unrolled: 1-line block ×5, first 2 shown]
	v_add_f64 v[0:1], v[2:3], v[0:1]
	v_add_f64 v[0:1], v[12:13], v[0:1]
	v_mul_f64 v[0:1], v[4:5], v[0:1]
	v_add_f64 v[2:3], v[8:9], v[0:1]
	scratch_load_dwordx2 v[6:7], off, off offset:2536 ; 8-byte Folded Reload
	v_add_f64 v[4:5], v[2:3], -v[8:9]
	scratch_load_dwordx2 v[8:9], off, off offset:2544 ; 8-byte Folded Reload
	v_add_f64 v[0:1], v[0:1], -v[4:5]
	v_mul_f64 v[4:5], v[2:3], v[2:3]
	v_ldexp_f64 v[0:1], v[0:1], 1
	v_cmp_class_f64_e64 vcc, v[16:17], s22
	s_waitcnt vmcnt(1)
	v_fmac_f64_e32 v[6:7], s[10:11], v[4:5]
	s_waitcnt vmcnt(0)
	v_fmac_f64_e32 v[8:9], v[4:5], v[6:7]
	scratch_load_dwordx2 v[6:7], off, off offset:2552 ; 8-byte Folded Reload
	s_waitcnt vmcnt(0)
	v_fmac_f64_e32 v[6:7], v[4:5], v[8:9]
	scratch_load_dwordx2 v[8:9], off, off offset:2560 ; 8-byte Folded Reload
	;; [unrolled: 3-line block ×4, first 2 shown]
	s_waitcnt vmcnt(0)
	v_fmac_f64_e32 v[8:9], v[4:5], v[6:7]
	v_ldexp_f64 v[6:7], v[2:3], 1
	v_mul_f64 v[2:3], v[2:3], v[4:5]
	v_mul_f64 v[2:3], v[2:3], v[8:9]
	v_add_f64 v[4:5], v[6:7], v[2:3]
	v_add_f64 v[6:7], v[4:5], -v[6:7]
	v_add_f64 v[2:3], v[2:3], -v[6:7]
	v_add_f64 v[0:1], v[0:1], v[2:3]
	v_add_f64 v[2:3], v[4:5], v[0:1]
	v_add_f64 v[4:5], v[2:3], -v[4:5]
	v_add_f64 v[0:1], v[0:1], -v[4:5]
	v_cvt_f64_i32_e32 v[4:5], v14
	v_mul_f64 v[6:7], v[4:5], s[14:15]
	v_fma_f64 v[8:9], v[4:5], s[14:15], -v[6:7]
	v_fmac_f64_e32 v[8:9], s[16:17], v[4:5]
	v_add_f64 v[4:5], v[6:7], v[8:9]
	v_add_f64 v[6:7], v[4:5], -v[6:7]
	v_add_f64 v[6:7], v[8:9], -v[6:7]
	v_add_f64 v[8:9], v[4:5], v[2:3]
	v_add_f64 v[10:11], v[8:9], -v[4:5]
	v_add_f64 v[12:13], v[8:9], -v[10:11]
	;; [unrolled: 1-line block ×4, first 2 shown]
	v_add_f64 v[2:3], v[2:3], v[4:5]
	v_add_f64 v[4:5], v[6:7], v[0:1]
	v_add_f64 v[10:11], v[4:5], -v[6:7]
	v_add_f64 v[12:13], v[4:5], -v[10:11]
	v_add_f64 v[2:3], v[4:5], v[2:3]
	v_add_f64 v[6:7], v[6:7], -v[12:13]
	v_add_f64 v[0:1], v[0:1], -v[10:11]
	v_add_f64 v[4:5], v[8:9], v[2:3]
	v_add_f64 v[0:1], v[0:1], v[6:7]
	v_add_f64 v[6:7], v[4:5], -v[8:9]
	v_add_f64 v[2:3], v[2:3], -v[6:7]
	v_add_f64 v[0:1], v[0:1], v[2:3]
	v_add_f64 v[0:1], v[4:5], v[0:1]
	v_cndmask_b32_e32 v0, v0, v16, vcc
	v_cndmask_b32_e32 v1, v1, v17, vcc
	v_cmp_ngt_f64_e32 vcc, 0, v[16:17]
	v_mov_b32_e32 v2, 0x7ff80000
	s_nop 0
	v_cndmask_b32_e32 v1, v2, v1, vcc
	v_cmp_nge_f64_e32 vcc, 0, v[16:17]
	v_mov_b32_e32 v2, 0xfff00000
	s_nop 0
	v_cndmask_b32_e32 v0, 0, v0, vcc
	v_cmp_neq_f64_e32 vcc, 0, v[16:17]
	s_nop 1
	v_cndmask_b32_e32 v1, v2, v1, vcc
	scratch_load_dwordx2 v[2:3], off, off offset:2528 ; 8-byte Folded Reload
	s_waitcnt vmcnt(0)
	v_add_f64 v[2:3], v[2:3], v[0:1]
	scratch_store_dwordx2 off, v[2:3], off offset:2528 ; 8-byte Folded Spill
.LBB0_28:                               ;   in Loop: Header=BB0_21 Depth=1
	scratch_load_dwordx4 v[26:29], off, off offset:400 ; 16-byte Folded Reload
	scratch_load_dwordx4 v[116:119], off, off offset:416 ; 16-byte Folded Reload
	s_nop 0
	scratch_load_dwordx4 v[0:3], off, off offset:176 ; 16-byte Folded Reload
	scratch_load_dwordx4 v[104:107], off, off offset:160 ; 16-byte Folded Reload
	scratch_load_dwordx4 v[96:99], off, off offset:272 ; 16-byte Folded Reload
	scratch_load_dwordx4 v[108:111], off, off offset:320 ; 16-byte Folded Reload
	v_mov_b64_e32 v[58:59], v[20:21]
	scratch_load_dwordx4 v[86:89], off, off offset:464 ; 16-byte Folded Reload
	scratch_load_dwordx4 v[78:81], off, off offset:736 ; 16-byte Folded Reload
	v_mov_b64_e32 v[56:57], v[18:19]
	scratch_load_dwordx4 v[120:123], off, off offset:192 ; 16-byte Folded Reload
	scratch_load_dwordx4 v[52:55], off, off offset:368 ; 16-byte Folded Reload
	v_mov_b64_e32 v[48:49], v[62:63]
	v_mov_b64_e32 v[50:51], v[64:65]
	;; [unrolled: 1-line block ×4, first 2 shown]
	s_and_b64 vcc, exec, s[2:3]
	scratch_load_dwordx4 v[40:43], off, off offset:32 ; 16-byte Folded Reload
	s_waitcnt vmcnt(10)
	v_fma_f64 v[4:5], v[26:27], v[90:91], 0
	v_fma_f64 v[6:7], v[28:29], v[90:91], 0
	s_waitcnt vmcnt(8)
	v_fmac_f64_e32 v[4:5], v[0:1], v[92:93]
	v_fmac_f64_e32 v[6:7], v[2:3], v[92:93]
	scratch_load_dwordx4 v[0:3], off, off   ; 16-byte Folded Reload
	s_waitcnt vmcnt(7)
	v_fma_f64 v[12:13], v[96:97], v[90:91], 0
	v_fma_f64 v[14:15], v[98:99], v[90:91], 0
	v_fmac_f64_e32 v[12:13], v[104:105], v[92:93]
	v_fmac_f64_e32 v[14:15], v[106:107], v[92:93]
	s_waitcnt vmcnt(4)
	v_fma_f64 v[38:39], v[78:79], v[90:91], 0
	v_fmac_f64_e32 v[4:5], v[116:117], v[56:57]
	v_fmac_f64_e32 v[6:7], v[118:119], v[56:57]
	;; [unrolled: 1-line block ×3, first 2 shown]
	v_fma_f64 v[70:71], v[80:81], v[90:91], 0
	v_fmac_f64_e32 v[70:71], v[110:111], v[92:93]
	s_waitcnt vmcnt(1)
	v_fmac_f64_e32 v[38:39], v[40:41], v[56:57]
	v_fmac_f64_e32 v[70:71], v[42:43], v[56:57]
	s_waitcnt vmcnt(0)
	v_fmac_f64_e32 v[12:13], v[0:1], v[56:57]
	v_fmac_f64_e32 v[14:15], v[2:3], v[56:57]
	;; [unrolled: 1-line block ×4, first 2 shown]
	scratch_load_dwordx4 v[0:3], off, off offset:336 ; 16-byte Folded Reload
	scratch_load_dwordx4 v[82:85], off, off offset:64 ; 16-byte Folded Reload
	;; [unrolled: 1-line block ×6, first 2 shown]
	v_fmac_f64_e32 v[4:5], v[120:121], v[58:59]
	v_fmac_f64_e32 v[6:7], v[122:123], v[58:59]
	v_fma_f64 v[22:23], v[52:53], v[90:91], 0
	v_fma_f64 v[24:25], v[54:55], v[90:91], 0
	v_fmac_f64_e32 v[22:23], v[86:87], v[92:93]
	v_fmac_f64_e32 v[24:25], v[88:89], v[92:93]
	scratch_load_dwordx4 v[124:127], off, off offset:480 ; 16-byte Folded Reload
	scratch_load_dwordx4 v[18:21], off, off offset:288 ; 16-byte Folded Reload
	;; [unrolled: 1-line block ×3, first 2 shown]
	v_mov_b64_e32 v[94:95], v[32:33]
	v_mov_b64_e32 v[92:93], v[30:31]
	scratch_load_dwordx4 v[30:33], off, off offset:240 ; 16-byte Folded Reload
	s_waitcnt vmcnt(9)
	v_fmac_f64_e32 v[22:23], v[0:1], v[56:57]
	s_waitcnt vmcnt(8)
	v_fmac_f64_e32 v[38:39], v[82:83], v[58:59]
	s_waitcnt vmcnt(6)
	v_fmac_f64_e32 v[4:5], v[44:45], v[8:9]
	v_fmac_f64_e32 v[6:7], v[46:47], v[8:9]
	s_waitcnt vmcnt(5)
	v_fmac_f64_e32 v[4:5], v[112:113], v[10:11]
	v_fmac_f64_e32 v[6:7], v[114:115], v[10:11]
	;; [unrolled: 1-line block ×3, first 2 shown]
	v_mov_b64_e32 v[72:73], v[38:39]
	v_mov_b64_e32 v[38:39], v[4:5]
	;; [unrolled: 1-line block ×5, first 2 shown]
	scratch_load_dwordx4 v[8:11], off, off offset:16 ; 16-byte Folded Reload
	v_fmac_f64_e32 v[22:23], v[62:63], v[58:59]
	v_fmac_f64_e32 v[24:25], v[64:65], v[58:59]
	;; [unrolled: 1-line block ×3, first 2 shown]
	s_waitcnt vmcnt(5)
	v_fmac_f64_e32 v[22:23], v[34:35], v[4:5]
	v_fmac_f64_e32 v[24:25], v[36:37], v[4:5]
	scratch_load_dwordx4 v[58:61], off, off offset:80 ; 16-byte Folded Reload
	s_waitcnt vmcnt(5)
	v_fmac_f64_e32 v[12:13], v[124:125], v[4:5]
	v_fmac_f64_e32 v[12:13], v[48:49], v[6:7]
	v_mov_b64_e32 v[74:75], v[12:13]
	v_fmac_f64_e32 v[14:15], v[126:127], v[4:5]
	v_fmac_f64_e32 v[14:15], v[50:51], v[6:7]
	v_mov_b64_e32 v[90:91], v[14:15]
	s_waitcnt vmcnt(1)
	v_fmac_f64_e32 v[22:23], v[8:9], v[6:7]
	v_fmac_f64_e32 v[24:25], v[10:11], v[6:7]
	scratch_load_dwordx4 v[8:11], off, off offset:112 ; 16-byte Folded Reload
	v_mov_b64_e32 v[12:13], v[22:23]
	v_mov_b64_e32 v[14:15], v[24:25]
	scratch_load_dwordx4 v[22:25], off, off offset:48 ; 16-byte Folded Reload
	s_waitcnt vmcnt(2)
	v_fmac_f64_e32 v[72:73], v[58:59], v[4:5]
	v_fmac_f64_e32 v[70:71], v[60:61], v[4:5]
	v_mov_b64_e32 v[4:5], v[74:75]
	v_fmac_f64_e32 v[72:73], v[100:101], v[6:7]
	v_fmac_f64_e32 v[70:71], v[102:103], v[6:7]
	v_mov_b64_e32 v[76:77], v[50:51]
	v_mov_b64_e32 v[74:75], v[48:49]
	scratch_load_dwordx4 v[48:51], off, off offset:352 ; 16-byte Folded Reload
	s_waitcnt vmcnt(2)
	v_fmac_f64_e32 v[4:5], v[8:9], v[66:67]
	v_fmac_f64_e32 v[4:5], v[18:19], v[68:69]
	scratch_store_dwordx2 off, v[4:5], off offset:1376 ; 8-byte Folded Spill
	v_fmac_f64_e32 v[90:91], v[10:11], v[66:67]
	scratch_load_dwordx4 v[4:7], off, off offset:256 ; 16-byte Folded Reload
	v_fmac_f64_e32 v[90:91], v[20:21], v[68:69]
	scratch_load_dwordx4 v[18:21], off, off offset:96 ; 16-byte Folded Reload
	s_waitcnt vmcnt(4)
	v_fmac_f64_e32 v[38:39], v[22:23], v[66:67]
	v_fmac_f64_e32 v[56:57], v[24:25], v[66:67]
	;; [unrolled: 1-line block ×4, first 2 shown]
	scratch_store_dwordx2 off, v[38:39], off offset:1392 ; 8-byte Folded Spill
	scratch_store_dwordx2 off, v[56:57], off offset:1384 ; 8-byte Folded Spill
	;; [unrolled: 1-line block ×3, first 2 shown]
	s_waitcnt vmcnt(4)
	v_fmac_f64_e32 v[72:73], v[4:5], v[66:67]
	v_fmac_f64_e32 v[70:71], v[6:7], v[66:67]
	scratch_load_dwordx4 v[4:7], off, off offset:176 ; 16-byte Folded Reload
	v_fmac_f64_e32 v[12:13], v[30:31], v[66:67]
	v_fmac_f64_e32 v[14:15], v[32:33], v[66:67]
	s_waitcnt vmcnt(4)
	v_fmac_f64_e32 v[12:13], v[18:19], v[68:69]
	v_fmac_f64_e32 v[14:15], v[20:21], v[68:69]
	scratch_store_dwordx2 off, v[12:13], off offset:1352 ; 8-byte Folded Spill
	scratch_store_dwordx2 off, v[14:15], off offset:1360 ; 8-byte Folded Spill
	v_mov_b64_e32 v[14:15], v[2:3]
	v_mov_b64_e32 v[12:13], v[0:1]
	scratch_load_dwordx4 v[0:3], off, off offset:816 ; 16-byte Folded Reload
	v_fmac_f64_e32 v[70:71], v[50:51], v[68:69]
	v_fmac_f64_e32 v[72:73], v[48:49], v[68:69]
	scratch_store_dwordx2 off, v[70:71], off offset:1336 ; 8-byte Folded Spill
	v_mov_b64_e32 v[70:71], v[10:11]
	scratch_store_dwordx2 off, v[72:73], off offset:1344 ; 8-byte Folded Spill
	v_mov_b64_e32 v[68:69], v[8:9]
	s_waitcnt vmcnt(2)
	v_fma_f64 v[66:67], v[26:27], v[0:1], 0
	v_fma_f64 v[38:39], v[28:29], v[0:1], 0
	;; [unrolled: 1-line block ×8, first 2 shown]
	v_fmac_f64_e32 v[66:67], v[4:5], v[2:3]
	v_fmac_f64_e32 v[38:39], v[6:7], v[2:3]
	;; [unrolled: 1-line block ×8, first 2 shown]
	scratch_load_dwordx4 v[0:3], off, off offset:528 ; 16-byte Folded Reload
	scratch_load_dwordx4 v[4:7], off, off   ; 16-byte Folded Reload
	s_waitcnt vmcnt(1)
	v_fmac_f64_e32 v[66:67], v[116:117], v[0:1]
	v_fmac_f64_e32 v[38:39], v[118:119], v[0:1]
	;; [unrolled: 1-line block ×4, first 2 shown]
	scratch_load_dwordx4 v[120:123], off, off offset:144 ; 16-byte Folded Reload
	s_waitcnt vmcnt(1)
	v_fmac_f64_e32 v[56:57], v[4:5], v[0:1]
	v_fmac_f64_e32 v[8:9], v[6:7], v[0:1]
	;; [unrolled: 1-line block ×10, first 2 shown]
	v_mov_b64_e32 v[40:41], v[74:75]
	v_mov_b64_e32 v[42:43], v[76:77]
	;; [unrolled: 1-line block ×4, first 2 shown]
	s_waitcnt vmcnt(0)
	v_fmac_f64_e32 v[56:57], v[120:121], v[2:3]
	v_fmac_f64_e32 v[8:9], v[122:123], v[2:3]
	scratch_load_dwordx4 v[0:3], off, off offset:752 ; 16-byte Folded Reload
	s_waitcnt vmcnt(0)
	v_fmac_f64_e32 v[66:67], v[44:45], v[0:1]
	v_fmac_f64_e32 v[38:39], v[46:47], v[0:1]
	;; [unrolled: 1-line block ×4, first 2 shown]
	scratch_load_dwordx4 v[112:115], off, off offset:16 ; 16-byte Folded Reload
	v_fmac_f64_e32 v[56:57], v[124:125], v[0:1]
	v_fmac_f64_e32 v[8:9], v[126:127], v[0:1]
	;; [unrolled: 1-line block ×10, first 2 shown]
	scratch_load_dwordx4 v[74:77], off, off offset:288 ; 16-byte Folded Reload
	s_waitcnt vmcnt(1)
	v_fmac_f64_e32 v[10:11], v[112:113], v[2:3]
	v_fmac_f64_e32 v[72:73], v[114:115], v[2:3]
	scratch_load_dwordx4 v[0:3], off, off offset:688 ; 16-byte Folded Reload
	s_waitcnt vmcnt(0)
	v_fmac_f64_e32 v[72:73], v[32:33], v[0:1]
	v_fmac_f64_e32 v[72:73], v[20:21], v[2:3]
	;; [unrolled: 1-line block ×3, first 2 shown]
	scratch_store_dwordx2 off, v[72:73], off offset:1440 ; 8-byte Folded Spill
	scratch_load_dwordx4 v[70:73], off, off offset:256 ; 16-byte Folded Reload
	v_fmac_f64_e32 v[66:67], v[22:23], v[0:1]
	v_fmac_f64_e32 v[38:39], v[24:25], v[0:1]
	;; [unrolled: 1-line block ×9, first 2 shown]
	scratch_store_dwordx2 off, v[66:67], off offset:1400 ; 8-byte Folded Spill
	scratch_store_dwordx2 off, v[38:39], off offset:1528 ; 8-byte Folded Spill
	;; [unrolled: 1-line block ×5, first 2 shown]
	v_mov_b64_e32 v[22:23], v[34:35]
	v_mov_b64_e32 v[24:25], v[36:37]
	s_waitcnt vmcnt(5)
	v_fmac_f64_e32 v[26:27], v[70:71], v[0:1]
	v_fmac_f64_e32 v[28:29], v[72:73], v[0:1]
	v_mov_b64_e32 v[66:67], v[70:71]
	v_fmac_f64_e32 v[26:27], v[48:49], v[2:3]
	v_mov_b64_e32 v[68:69], v[72:73]
	v_fmac_f64_e32 v[28:29], v[50:51], v[2:3]
	scratch_load_dwordx4 v[0:3], off, off offset:800 ; 16-byte Folded Reload
	scratch_load_dwordx4 v[70:73], off, off offset:400 ; 16-byte Folded Reload
	;; [unrolled: 1-line block ×5, first 2 shown]
	s_waitcnt vmcnt(4)
	v_fma_f64 v[36:37], v[98:99], v[0:1], 0
	s_waitcnt vmcnt(3)
	v_fma_f64 v[6:7], v[70:71], v[0:1], 0
	s_waitcnt vmcnt(2)
	v_fmac_f64_e32 v[6:7], v[8:9], v[2:3]
	v_fma_f64 v[8:9], v[72:73], v[0:1], 0
	v_fmac_f64_e32 v[8:9], v[10:11], v[2:3]
	v_fma_f64 v[10:11], v[96:97], v[0:1], 0
	v_fma_f64 v[34:35], v[52:53], v[0:1], 0
	;; [unrolled: 1-line block ×5, first 2 shown]
	v_fmac_f64_e32 v[10:11], v[104:105], v[2:3]
	v_fmac_f64_e32 v[36:37], v[106:107], v[2:3]
	s_waitcnt vmcnt(0)
	v_fmac_f64_e32 v[34:35], v[30:31], v[2:3]
	v_fmac_f64_e32 v[4:5], v[32:33], v[2:3]
	;; [unrolled: 1-line block ×4, first 2 shown]
	scratch_load_dwordx4 v[0:3], off, off offset:672 ; 16-byte Folded Reload
	v_mov_b64_e32 v[106:107], v[32:33]
	v_mov_b64_e32 v[104:105], v[30:31]
	;; [unrolled: 1-line block ×4, first 2 shown]
	scratch_load_dwordx4 v[52:55], off, off offset:224 ; 16-byte Folded Reload
	s_waitcnt vmcnt(1)
	v_fmac_f64_e32 v[6:7], v[116:117], v[0:1]
	v_fmac_f64_e32 v[8:9], v[118:119], v[0:1]
	;; [unrolled: 1-line block ×4, first 2 shown]
	scratch_load_dwordx4 v[18:21], off, off offset:32 ; 16-byte Folded Reload
	v_fmac_f64_e32 v[10:11], v[88:89], v[0:1]
	v_fmac_f64_e32 v[36:37], v[90:91], v[0:1]
	;; [unrolled: 1-line block ×8, first 2 shown]
	s_waitcnt vmcnt(0)
	v_fmac_f64_e32 v[86:87], v[18:19], v[0:1]
	v_fmac_f64_e32 v[56:57], v[20:21], v[0:1]
	;; [unrolled: 1-line block ×4, first 2 shown]
	scratch_load_dwordx4 v[0:3], off, off offset:656 ; 16-byte Folded Reload
	s_waitcnt vmcnt(0)
	v_fmac_f64_e32 v[6:7], v[44:45], v[0:1]
	v_fmac_f64_e32 v[8:9], v[46:47], v[0:1]
	;; [unrolled: 1-line block ×16, first 2 shown]
	scratch_load_dwordx4 v[0:3], off, off offset:640 ; 16-byte Folded Reload
	scratch_load_dwordx4 v[18:21], off, off offset:48 ; 16-byte Folded Reload
	;; [unrolled: 1-line block ×3, first 2 shown]
	s_waitcnt vmcnt(2)
	v_fmac_f64_e32 v[86:87], v[66:67], v[0:1]
	s_waitcnt vmcnt(1)
	v_fmac_f64_e32 v[6:7], v[18:19], v[0:1]
	v_fmac_f64_e32 v[8:9], v[20:21], v[0:1]
	v_fmac_f64_e32 v[6:7], v[92:93], v[2:3]
	v_fmac_f64_e32 v[8:9], v[94:95], v[2:3]
	scratch_load_dwordx4 v[18:21], off, off offset:240 ; 16-byte Folded Reload
	v_fmac_f64_e32 v[56:57], v[68:69], v[0:1]
	scratch_store_dwordx2 off, v[6:7], off offset:1552 ; 8-byte Folded Spill
	scratch_store_dwordx2 off, v[8:9], off offset:1536 ; 8-byte Folded Spill
	scratch_load_dwordx4 v[6:9], off, off offset:96 ; 16-byte Folded Reload
	s_waitcnt vmcnt(4)
	v_fmac_f64_e32 v[10:11], v[112:113], v[0:1]
	v_fmac_f64_e32 v[10:11], v[74:75], v[2:3]
	scratch_store_dwordx2 off, v[10:11], off offset:1520 ; 8-byte Folded Spill
	v_fmac_f64_e32 v[36:37], v[114:115], v[0:1]
	v_fmac_f64_e32 v[36:37], v[76:77], v[2:3]
	;; [unrolled: 1-line block ×4, first 2 shown]
	scratch_store_dwordx2 off, v[36:37], off offset:1496 ; 8-byte Folded Spill
	s_waitcnt vmcnt(5)
	v_fmac_f64_e32 v[4:5], v[20:21], v[0:1]
	v_fmac_f64_e32 v[34:35], v[18:19], v[0:1]
	s_waitcnt vmcnt(2)
	v_fmac_f64_e32 v[4:5], v[8:9], v[2:3]
	scratch_load_dwordx4 v[8:11], off, off offset:960 ; 16-byte Folded Reload
	v_fmac_f64_e32 v[34:35], v[6:7], v[2:3]
	scratch_load_dwordx4 v[0:3], off, off offset:176 ; 16-byte Folded Reload
	s_waitcnt vmcnt(1)
	v_fma_f64 v[36:37], v[70:71], v[8:9], 0
	scratch_store_dwordx2 off, v[4:5], off offset:1456 ; 8-byte Folded Spill
	scratch_load_dwordx4 v[4:7], off, off offset:160 ; 16-byte Folded Reload
	s_waitcnt vmcnt(2)
	v_fmac_f64_e32 v[36:37], v[0:1], v[10:11]
	scratch_store_dwordx2 off, v[34:35], off offset:1472 ; 8-byte Folded Spill
	v_fma_f64 v[34:35], v[72:73], v[8:9], 0
	v_fmac_f64_e32 v[34:35], v[2:3], v[10:11]
	v_fma_f64 v[2:3], v[96:97], v[8:9], 0
	v_fma_f64 v[0:1], v[98:99], v[8:9], 0
	;; [unrolled: 1-line block ×4, first 2 shown]
	v_fmac_f64_e32 v[66:67], v[108:109], v[10:11]
	v_fmac_f64_e32 v[38:39], v[110:111], v[10:11]
	s_waitcnt vmcnt(1)
	v_fmac_f64_e32 v[2:3], v[4:5], v[10:11]
	v_fmac_f64_e32 v[0:1], v[6:7], v[10:11]
	scratch_load_dwordx4 v[4:7], off, off offset:368 ; 16-byte Folded Reload
	s_waitcnt vmcnt(0)
	v_fma_f64 v[88:89], v[4:5], v[8:9], 0
	v_fma_f64 v[6:7], v[6:7], v[8:9], 0
	v_fmac_f64_e32 v[88:89], v[104:105], v[10:11]
	v_fmac_f64_e32 v[6:7], v[106:107], v[10:11]
	scratch_load_dwordx4 v[8:11], off, off offset:928 ; 16-byte Folded Reload
	s_waitcnt vmcnt(0)
	v_fmac_f64_e32 v[36:37], v[116:117], v[8:9]
	v_fmac_f64_e32 v[34:35], v[118:119], v[8:9]
	;; [unrolled: 1-line block ×4, first 2 shown]
	scratch_load_dwordx4 v[30:33], off, off ; 16-byte Folded Reload
	v_fmac_f64_e32 v[88:89], v[12:13], v[8:9]
	v_fmac_f64_e32 v[6:7], v[14:15], v[8:9]
	;; [unrolled: 1-line block ×4, first 2 shown]
	s_waitcnt vmcnt(0)
	v_fmac_f64_e32 v[2:3], v[30:31], v[8:9]
	v_fmac_f64_e32 v[0:1], v[32:33], v[8:9]
	scratch_load_dwordx4 v[30:33], off, off offset:32 ; 16-byte Folded Reload
	v_fmac_f64_e32 v[2:3], v[120:121], v[10:11]
	v_fmac_f64_e32 v[0:1], v[122:123], v[10:11]
	s_waitcnt vmcnt(0)
	v_fmac_f64_e32 v[66:67], v[30:31], v[8:9]
	v_fmac_f64_e32 v[38:39], v[32:33], v[8:9]
	;; [unrolled: 1-line block ×4, first 2 shown]
	scratch_load_dwordx4 v[8:11], off, off offset:864 ; 16-byte Folded Reload
	scratch_load_dwordx4 v[30:33], off, off offset:16 ; 16-byte Folded Reload
	s_waitcnt vmcnt(1)
	v_fmac_f64_e32 v[36:37], v[44:45], v[8:9]
	v_fmac_f64_e32 v[34:35], v[46:47], v[8:9]
	;; [unrolled: 1-line block ×12, first 2 shown]
	s_waitcnt vmcnt(0)
	v_fmac_f64_e32 v[88:89], v[30:31], v[10:11]
	v_fmac_f64_e32 v[6:7], v[32:33], v[10:11]
	;; [unrolled: 1-line block ×4, first 2 shown]
	scratch_load_dwordx4 v[8:11], off, off offset:592 ; 16-byte Folded Reload
	scratch_load_dwordx4 v[22:25], off, off offset:48 ; 16-byte Folded Reload
	;; [unrolled: 1-line block ×3, first 2 shown]
	s_waitcnt vmcnt(2)
	v_fmac_f64_e32 v[88:89], v[18:19], v[8:9]
	v_fmac_f64_e32 v[6:7], v[20:21], v[8:9]
	scratch_load_dwordx4 v[18:21], off, off offset:256 ; 16-byte Folded Reload
	s_waitcnt vmcnt(2)
	v_fmac_f64_e32 v[36:37], v[22:23], v[8:9]
	v_fmac_f64_e32 v[34:35], v[24:25], v[8:9]
	scratch_load_dwordx4 v[22:25], off, off offset:96 ; 16-byte Folded Reload
	v_fmac_f64_e32 v[0:1], v[114:115], v[8:9]
	v_fmac_f64_e32 v[2:3], v[112:113], v[8:9]
	;; [unrolled: 1-line block ×4, first 2 shown]
	scratch_store_dwordx2 off, v[0:1], off offset:1504 ; 8-byte Folded Spill
	s_waitcnt vmcnt(3)
	v_fma_f64 v[60:61], v[96:97], v[30:31], 0
	v_fma_f64 v[112:113], v[98:99], v[30:31], 0
	v_fmac_f64_e32 v[36:37], v[92:93], v[10:11]
	v_fmac_f64_e32 v[34:35], v[94:95], v[10:11]
	scratch_store_dwordx2 off, v[36:37], off offset:1560 ; 8-byte Folded Spill
	scratch_store_dwordx2 off, v[34:35], off offset:1544 ; 8-byte Folded Spill
	scratch_load_dwordx4 v[96:99], off, off offset:32 ; 16-byte Folded Reload
	s_waitcnt vmcnt(5)
	v_fmac_f64_e32 v[66:67], v[18:19], v[8:9]
	v_fmac_f64_e32 v[38:39], v[20:21], v[8:9]
	v_mov_b64_e32 v[18:19], v[70:71]
	v_mov_b64_e32 v[20:21], v[72:73]
	scratch_load_dwordx4 v[70:73], off, off offset:368 ; 16-byte Folded Reload
	v_fma_f64 v[100:101], v[18:19], v[30:31], 0
	v_fma_f64 v[84:85], v[20:21], v[30:31], 0
	v_mov_b64_e32 v[18:19], v[104:105]
	v_fmac_f64_e32 v[66:67], v[48:49], v[10:11]
	v_mov_b64_e32 v[20:21], v[106:107]
	scratch_store_dwordx2 off, v[66:67], off offset:1432 ; 8-byte Folded Spill
	v_mov_b64_e32 v[104:105], v[20:21]
	v_mov_b64_e32 v[66:67], v[78:79]
	;; [unrolled: 1-line block ×4, first 2 shown]
	v_fma_f64 v[48:49], v[66:67], v[30:31], 0
	v_fmac_f64_e32 v[38:39], v[50:51], v[10:11]
	s_waitcnt vmcnt(1)
	v_fma_f64 v[0:1], v[70:71], v[30:31], 0
	v_fma_f64 v[74:75], v[72:73], v[30:31], 0
	v_fmac_f64_e32 v[0:1], v[18:19], v[32:33]
	v_fmac_f64_e32 v[74:75], v[20:21], v[32:33]
	v_mov_b64_e32 v[18:19], v[108:109]
	v_mov_b64_e32 v[20:21], v[110:111]
	v_fma_f64 v[110:111], v[68:69], v[30:31], 0
	v_fmac_f64_e32 v[48:49], v[18:19], v[32:33]
	v_fmac_f64_e32 v[110:111], v[20:21], v[32:33]
	scratch_load_dwordx4 v[18:21], off, off offset:192 ; 16-byte Folded Reload
	v_fmac_f64_e32 v[88:89], v[22:23], v[10:11]
	v_fmac_f64_e32 v[6:7], v[24:25], v[10:11]
	scratch_load_dwordx4 v[22:25], off, off offset:176 ; 16-byte Folded Reload
	v_mov_b64_e32 v[8:9], v[44:45]
	v_mov_b64_e32 v[10:11], v[46:47]
	s_waitcnt vmcnt(0)
	v_fmac_f64_e32 v[100:101], v[22:23], v[32:33]
	v_fmac_f64_e32 v[84:85], v[24:25], v[32:33]
	scratch_load_dwordx4 v[22:25], off, off offset:160 ; 16-byte Folded Reload
	s_waitcnt vmcnt(0)
	v_fmac_f64_e32 v[60:61], v[22:23], v[32:33]
	v_fmac_f64_e32 v[112:113], v[24:25], v[32:33]
	scratch_load_dwordx4 v[30:33], off, off offset:608 ; 16-byte Folded Reload
	s_waitcnt vmcnt(0)
	v_fmac_f64_e32 v[100:101], v[116:117], v[30:31]
	v_fmac_f64_e32 v[84:85], v[118:119], v[30:31]
	;; [unrolled: 1-line block ×4, first 2 shown]
	scratch_load_dwordx4 v[18:21], off, off ; 16-byte Folded Reload
	v_fmac_f64_e32 v[0:1], v[12:13], v[30:31]
	v_fmac_f64_e32 v[74:75], v[14:15], v[30:31]
	;; [unrolled: 1-line block ×6, first 2 shown]
	s_waitcnt vmcnt(0)
	v_fmac_f64_e32 v[60:61], v[18:19], v[30:31]
	v_fmac_f64_e32 v[112:113], v[20:21], v[30:31]
	scratch_load_dwordx4 v[18:21], off, off offset:64 ; 16-byte Folded Reload
	v_fmac_f64_e32 v[60:61], v[120:121], v[32:33]
	v_fmac_f64_e32 v[112:113], v[122:123], v[32:33]
	s_waitcnt vmcnt(0)
	v_fmac_f64_e32 v[48:49], v[18:19], v[32:33]
	v_fmac_f64_e32 v[110:111], v[20:21], v[32:33]
	scratch_load_dwordx4 v[30:33], off, off offset:912 ; 16-byte Folded Reload
	scratch_load_dwordx4 v[20:23], off, off offset:208 ; 16-byte Folded Reload
	s_waitcnt vmcnt(1)
	v_fmac_f64_e32 v[100:101], v[8:9], v[30:31]
	s_waitcnt vmcnt(0)
	v_fmac_f64_e32 v[0:1], v[20:21], v[30:31]
	scratch_load_dwordx4 v[18:21], off, off offset:16 ; 16-byte Folded Reload
	v_fmac_f64_e32 v[74:75], v[22:23], v[30:31]
	scratch_load_dwordx4 v[22:25], off, off offset:128 ; 16-byte Folded Reload
	v_fmac_f64_e32 v[84:85], v[10:11], v[30:31]
	v_fmac_f64_e32 v[60:61], v[124:125], v[30:31]
	;; [unrolled: 1-line block ×7, first 2 shown]
	s_waitcnt vmcnt(1)
	v_fmac_f64_e32 v[0:1], v[18:19], v[32:33]
	v_fmac_f64_e32 v[74:75], v[20:21], v[32:33]
	scratch_load_dwordx4 v[18:21], off, off offset:80 ; 16-byte Folded Reload
	s_waitcnt vmcnt(0)
	v_fmac_f64_e32 v[48:49], v[18:19], v[30:31]
	v_fmac_f64_e32 v[110:111], v[20:21], v[30:31]
	;; [unrolled: 1-line block ×4, first 2 shown]
	scratch_load_dwordx4 v[30:33], off, off offset:944 ; 16-byte Folded Reload
	scratch_load_dwordx4 v[18:21], off, off offset:48 ; 16-byte Folded Reload
	scratch_load_dwordx4 v[22:25], off, off offset:288 ; 16-byte Folded Reload
	scratch_load_dwordx4 v[34:37], off, off offset:352 ; 16-byte Folded Reload
	s_waitcnt vmcnt(2)
	v_fmac_f64_e32 v[100:101], v[18:19], v[30:31]
	v_fmac_f64_e32 v[84:85], v[20:21], v[30:31]
	scratch_load_dwordx4 v[18:21], off, off offset:112 ; 16-byte Folded Reload
	v_fmac_f64_e32 v[100:101], v[92:93], v[32:33]
	v_fmac_f64_e32 v[84:85], v[94:95], v[32:33]
	s_waitcnt vmcnt(1)
	v_mov_b64_e32 v[92:93], v[36:37]
	v_mov_b64_e32 v[90:91], v[34:35]
	s_waitcnt vmcnt(0)
	v_fmac_f64_e32 v[60:61], v[18:19], v[30:31]
	v_fmac_f64_e32 v[60:61], v[22:23], v[32:33]
	;; [unrolled: 1-line block ×3, first 2 shown]
	scratch_load_dwordx4 v[20:23], off, off offset:240 ; 16-byte Folded Reload
	v_fmac_f64_e32 v[112:113], v[24:25], v[32:33]
	s_waitcnt vmcnt(0)
	v_fmac_f64_e32 v[0:1], v[20:21], v[30:31]
	scratch_load_dwordx4 v[18:21], off, off offset:96 ; 16-byte Folded Reload
	v_fmac_f64_e32 v[74:75], v[22:23], v[30:31]
	s_waitcnt vmcnt(0)
	v_fmac_f64_e32 v[0:1], v[18:19], v[32:33]
	v_fmac_f64_e32 v[74:75], v[20:21], v[32:33]
	scratch_load_dwordx4 v[18:21], off, off offset:256 ; 16-byte Folded Reload
	s_waitcnt vmcnt(0)
	v_fmac_f64_e32 v[48:49], v[18:19], v[30:31]
	scratch_store_dwordx2 off, v[0:1], off offset:1480 ; 8-byte Folded Spill
	scratch_load_dwordx4 v[78:81], off, off offset:496 ; 16-byte Folded Reload
	scratch_load_dwordx4 v[40:43], off, off offset:400 ; 16-byte Folded Reload
	v_fmac_f64_e32 v[110:111], v[20:21], v[30:31]
	scratch_load_dwordx4 v[18:21], off, off offset:176 ; 16-byte Folded Reload
	v_fmac_f64_e32 v[48:49], v[34:35], v[32:33]
	scratch_load_dwordx4 v[52:55], off, off ; 16-byte Folded Reload
	v_fmac_f64_e32 v[110:111], v[36:37], v[32:33]
	v_mov_b64_e32 v[30:31], v[62:63]
	v_mov_b64_e32 v[32:33], v[64:65]
	;; [unrolled: 1-line block ×3, first 2 shown]
	s_waitcnt vmcnt(3)
	v_fma_f64 v[122:123], v[70:71], v[78:79], 0
	s_waitcnt vmcnt(2)
	v_fma_f64 v[106:107], v[42:43], v[78:79], 0
	v_fma_f64 v[94:95], v[40:41], v[78:79], 0
	s_waitcnt vmcnt(1)
	v_fmac_f64_e32 v[106:107], v[20:21], v[80:81]
	scratch_load_dwordx4 v[20:23], off, off offset:272 ; 16-byte Folded Reload
	v_fmac_f64_e32 v[94:95], v[18:19], v[80:81]
	v_fma_f64 v[76:77], v[72:73], v[78:79], 0
	v_fma_f64 v[50:51], v[66:67], v[78:79], 0
	v_fma_f64 v[46:47], v[68:69], v[78:79], 0
	v_fmac_f64_e32 v[122:123], v[102:103], v[80:81]
	v_fmac_f64_e32 v[76:77], v[104:105], v[80:81]
	v_mov_b64_e32 v[72:73], v[42:43]
	v_mov_b64_e32 v[70:71], v[40:41]
	s_waitcnt vmcnt(0)
	v_fma_f64 v[34:35], v[20:21], v[78:79], 0
	scratch_load_dwordx4 v[18:21], off, off offset:160 ; 16-byte Folded Reload
	v_fma_f64 v[114:115], v[22:23], v[78:79], 0
	s_waitcnt vmcnt(0)
	v_mov_b64_e32 v[24:25], v[20:21]
	v_fmac_f64_e32 v[34:35], v[18:19], v[80:81]
	v_fmac_f64_e32 v[114:115], v[20:21], v[80:81]
	v_mov_b64_e32 v[22:23], v[18:19]
	scratch_load_dwordx4 v[18:21], off, off offset:320 ; 16-byte Folded Reload
	s_waitcnt vmcnt(0)
	v_fmac_f64_e32 v[50:51], v[18:19], v[80:81]
	v_fmac_f64_e32 v[46:47], v[20:21], v[80:81]
	scratch_load_dwordx4 v[78:81], off, off offset:576 ; 16-byte Folded Reload
	scratch_load_dwordx4 v[18:21], off, off offset:192 ; 16-byte Folded Reload
	s_waitcnt vmcnt(1)
	v_fmac_f64_e32 v[94:95], v[116:117], v[78:79]
	v_fmac_f64_e32 v[106:107], v[118:119], v[78:79]
	s_waitcnt vmcnt(0)
	v_fmac_f64_e32 v[94:95], v[18:19], v[80:81]
	v_fmac_f64_e32 v[106:107], v[20:21], v[80:81]
	scratch_load_dwordx4 v[18:21], off, off offset:144 ; 16-byte Folded Reload
	v_fmac_f64_e32 v[34:35], v[52:53], v[78:79]
	v_fmac_f64_e32 v[114:115], v[54:55], v[78:79]
	v_mov_b64_e32 v[68:69], v[54:55]
	v_fmac_f64_e32 v[122:123], v[12:13], v[78:79]
	v_fmac_f64_e32 v[76:77], v[14:15], v[78:79]
	;; [unrolled: 1-line block ×4, first 2 shown]
	v_mov_b64_e32 v[66:67], v[52:53]
	v_fmac_f64_e32 v[122:123], v[30:31], v[80:81]
	v_fmac_f64_e32 v[76:77], v[32:33], v[80:81]
	scratch_load_dwordx4 v[52:55], off, off offset:16 ; 16-byte Folded Reload
	s_waitcnt vmcnt(1)
	v_fmac_f64_e32 v[34:35], v[18:19], v[80:81]
	v_fmac_f64_e32 v[114:115], v[20:21], v[80:81]
	scratch_load_dwordx4 v[18:21], off, off offset:64 ; 16-byte Folded Reload
	s_waitcnt vmcnt(0)
	v_fmac_f64_e32 v[50:51], v[18:19], v[80:81]
	v_fmac_f64_e32 v[46:47], v[20:21], v[80:81]
	scratch_load_dwordx4 v[78:81], off, off offset:560 ; 16-byte Folded Reload
	scratch_load_dwordx4 v[18:21], off, off offset:224 ; 16-byte Folded Reload
	s_waitcnt vmcnt(1)
	v_fmac_f64_e32 v[94:95], v[8:9], v[78:79]
	v_fmac_f64_e32 v[106:107], v[10:11], v[78:79]
	s_waitcnt vmcnt(0)
	v_fmac_f64_e32 v[94:95], v[18:19], v[80:81]
	v_fmac_f64_e32 v[106:107], v[20:21], v[80:81]
	scratch_load_dwordx4 v[18:21], off, off offset:432 ; 16-byte Folded Reload
	v_fmac_f64_e32 v[34:35], v[124:125], v[78:79]
	v_fmac_f64_e32 v[114:115], v[126:127], v[78:79]
	s_waitcnt vmcnt(0)
	v_fmac_f64_e32 v[34:35], v[18:19], v[80:81]
	v_fmac_f64_e32 v[114:115], v[20:21], v[80:81]
	scratch_load_dwordx4 v[18:21], off, off offset:208 ; 16-byte Folded Reload
	s_waitcnt vmcnt(0)
	v_fmac_f64_e32 v[122:123], v[18:19], v[78:79]
	v_fmac_f64_e32 v[76:77], v[20:21], v[78:79]
	scratch_load_dwordx4 v[18:21], off, off offset:80 ; 16-byte Folded Reload
	v_fmac_f64_e32 v[122:123], v[52:53], v[80:81]
	v_fmac_f64_e32 v[76:77], v[54:55], v[80:81]
	scratch_load_dwordx4 v[52:55], off, off offset:128 ; 16-byte Folded Reload
	s_waitcnt vmcnt(1)
	v_fmac_f64_e32 v[50:51], v[18:19], v[78:79]
	v_fmac_f64_e32 v[46:47], v[20:21], v[78:79]
	s_waitcnt vmcnt(0)
	v_fmac_f64_e32 v[50:51], v[52:53], v[80:81]
	v_fmac_f64_e32 v[46:47], v[54:55], v[80:81]
	scratch_load_dwordx4 v[78:81], off, off offset:544 ; 16-byte Folded Reload
	scratch_load_dwordx4 v[18:21], off, off offset:48 ; 16-byte Folded Reload
	;; [unrolled: 1-line block ×5, first 2 shown]
	s_waitcnt vmcnt(3)
	v_fmac_f64_e32 v[94:95], v[18:19], v[78:79]
	v_fmac_f64_e32 v[106:107], v[20:21], v[78:79]
	scratch_load_dwordx4 v[18:21], off, off offset:112 ; 16-byte Folded Reload
	s_waitcnt vmcnt(3)
	v_fmac_f64_e32 v[94:95], v[52:53], v[80:81]
	v_fmac_f64_e32 v[106:107], v[54:55], v[80:81]
	scratch_load_dwordx4 v[52:55], off, off offset:288 ; 16-byte Folded Reload
	s_waitcnt vmcnt(2)
	v_mov_b64_e32 v[40:41], v[96:97]
	v_mov_b64_e32 v[42:43], v[98:99]
	s_waitcnt vmcnt(1)
	v_fmac_f64_e32 v[34:35], v[18:19], v[78:79]
	v_fmac_f64_e32 v[114:115], v[20:21], v[78:79]
	scratch_load_dwordx4 v[18:21], off, off offset:96 ; 16-byte Folded Reload
	s_waitcnt vmcnt(1)
	v_fmac_f64_e32 v[34:35], v[52:53], v[80:81]
	v_fmac_f64_e32 v[114:115], v[54:55], v[80:81]
	scratch_load_dwordx4 v[52:55], off, off offset:240 ; 16-byte Folded Reload
	s_waitcnt vmcnt(0)
	v_fmac_f64_e32 v[122:123], v[52:53], v[78:79]
	v_fmac_f64_e32 v[76:77], v[54:55], v[78:79]
	;; [unrolled: 1-line block ×4, first 2 shown]
	scratch_load_dwordx4 v[18:21], off, off offset:256 ; 16-byte Folded Reload
	s_waitcnt vmcnt(0)
	v_fmac_f64_e32 v[50:51], v[18:19], v[78:79]
	v_fmac_f64_e32 v[46:47], v[20:21], v[78:79]
	;; [unrolled: 1-line block ×4, first 2 shown]
	scratch_load_dwordx4 v[78:81], off, off offset:896 ; 16-byte Folded Reload
	scratch_load_dwordx4 v[18:21], off, off offset:272 ; 16-byte Folded Reload
	s_waitcnt vmcnt(1)
	v_fma_f64 v[54:55], v[70:71], v[78:79], 0
	s_waitcnt vmcnt(0)
	v_fma_f64 v[36:37], v[18:19], v[78:79], 0
	v_fma_f64 v[58:59], v[20:21], v[78:79], 0
	v_fmac_f64_e32 v[36:37], v[22:23], v[80:81]
	v_fmac_f64_e32 v[58:59], v[24:25], v[80:81]
	scratch_load_dwordx4 v[22:25], off, off offset:368 ; 16-byte Folded Reload
	v_fmac_f64_e32 v[54:55], v[96:97], v[80:81]
	scratch_load_dwordx4 v[18:21], off, off offset:736 ; 16-byte Folded Reload
	v_fma_f64 v[108:109], v[72:73], v[78:79], 0
	v_fmac_f64_e32 v[108:109], v[98:99], v[80:81]
	s_waitcnt vmcnt(1)
	v_fma_f64 v[96:97], v[22:23], v[78:79], 0
	v_fma_f64 v[120:121], v[24:25], v[78:79], 0
	v_fmac_f64_e32 v[96:97], v[102:103], v[80:81]
	v_fmac_f64_e32 v[120:121], v[104:105], v[80:81]
	scratch_load_dwordx4 v[102:105], off, off offset:320 ; 16-byte Folded Reload
	s_waitcnt vmcnt(1)
	v_fma_f64 v[90:91], v[18:19], v[78:79], 0
	v_fma_f64 v[44:45], v[20:21], v[78:79], 0
	s_waitcnt vmcnt(0)
	v_fmac_f64_e32 v[90:91], v[102:103], v[80:81]
	v_fmac_f64_e32 v[44:45], v[104:105], v[80:81]
	scratch_load_dwordx4 v[78:81], off, off offset:720 ; 16-byte Folded Reload
	scratch_load_dwordx4 v[102:105], off, off offset:16 ; 16-byte Folded Reload
	s_waitcnt vmcnt(1)
	v_fmac_f64_e32 v[54:55], v[116:117], v[78:79]
	v_fmac_f64_e32 v[108:109], v[118:119], v[78:79]
	;; [unrolled: 1-line block ×4, first 2 shown]
	v_mov_b64_e32 v[62:63], v[66:67]
	v_mov_b64_e32 v[64:65], v[68:69]
	scratch_load_dwordx4 v[66:69], off, off offset:144 ; 16-byte Folded Reload
	v_fmac_f64_e32 v[36:37], v[62:63], v[78:79]
	v_fmac_f64_e32 v[58:59], v[64:65], v[78:79]
	scratch_load_dwordx4 v[62:65], off, off offset:32 ; 16-byte Folded Reload
	v_fmac_f64_e32 v[96:97], v[12:13], v[78:79]
	v_fmac_f64_e32 v[120:121], v[14:15], v[78:79]
	;; [unrolled: 1-line block ×4, first 2 shown]
	s_waitcnt vmcnt(1)
	v_fmac_f64_e32 v[36:37], v[66:67], v[80:81]
	v_fmac_f64_e32 v[58:59], v[68:69], v[80:81]
	scratch_load_dwordx4 v[66:69], off, off offset:64 ; 16-byte Folded Reload
	s_waitcnt vmcnt(1)
	v_fmac_f64_e32 v[90:91], v[62:63], v[78:79]
	v_fmac_f64_e32 v[44:45], v[64:65], v[78:79]
	scratch_load_dwordx4 v[62:65], off, off offset:224 ; 16-byte Folded Reload
	;; [unrolled: 4-line block ×3, first 2 shown]
	scratch_load_dwordx4 v[66:69], off, off offset:432 ; 16-byte Folded Reload
	s_waitcnt vmcnt(1)
	v_fmac_f64_e32 v[54:55], v[8:9], v[78:79]
	v_fmac_f64_e32 v[108:109], v[10:11], v[78:79]
	;; [unrolled: 1-line block ×4, first 2 shown]
	scratch_load_dwordx4 v[62:65], off, off offset:208 ; 16-byte Folded Reload
	v_fmac_f64_e32 v[36:37], v[124:125], v[78:79]
	v_fmac_f64_e32 v[58:59], v[126:127], v[78:79]
	s_waitcnt vmcnt(1)
	v_fmac_f64_e32 v[36:37], v[66:67], v[80:81]
	v_fmac_f64_e32 v[58:59], v[68:69], v[80:81]
	s_waitcnt vmcnt(0)
	v_fmac_f64_e32 v[96:97], v[62:63], v[78:79]
	v_fmac_f64_e32 v[120:121], v[64:65], v[78:79]
	scratch_load_dwordx4 v[62:65], off, off offset:80 ; 16-byte Folded Reload
	v_fmac_f64_e32 v[96:97], v[102:103], v[80:81]
	v_fmac_f64_e32 v[120:121], v[104:105], v[80:81]
	scratch_load_dwordx4 v[102:105], off, off offset:128 ; 16-byte Folded Reload
	s_waitcnt vmcnt(1)
	v_fmac_f64_e32 v[90:91], v[62:63], v[78:79]
	v_fmac_f64_e32 v[44:45], v[64:65], v[78:79]
	s_waitcnt vmcnt(0)
	v_fmac_f64_e32 v[90:91], v[102:103], v[80:81]
	v_fmac_f64_e32 v[44:45], v[104:105], v[80:81]
	scratch_load_dwordx4 v[78:81], off, off offset:832 ; 16-byte Folded Reload
	scratch_load_dwordx4 v[102:105], off, off offset:48 ; 16-byte Folded Reload
	;; [unrolled: 1-line block ×3, first 2 shown]
	s_waitcnt vmcnt(1)
	v_fmac_f64_e32 v[54:55], v[102:103], v[78:79]
	v_fmac_f64_e32 v[108:109], v[104:105], v[78:79]
	scratch_load_dwordx4 v[102:105], off, off offset:112 ; 16-byte Folded Reload
	s_waitcnt vmcnt(1)
	v_fmac_f64_e32 v[54:55], v[62:63], v[80:81]
	v_fmac_f64_e32 v[108:109], v[64:65], v[80:81]
	scratch_load_dwordx4 v[62:65], off, off offset:288 ; 16-byte Folded Reload
	;; [unrolled: 4-line block ×5, first 2 shown]
	v_fmac_f64_e32 v[96:97], v[102:103], v[80:81]
	v_fmac_f64_e32 v[120:121], v[104:105], v[80:81]
	scratch_load_dwordx4 v[102:105], off, off offset:352 ; 16-byte Folded Reload
	s_waitcnt vmcnt(1)
	v_fmac_f64_e32 v[90:91], v[62:63], v[78:79]
	v_fmac_f64_e32 v[44:45], v[64:65], v[78:79]
	v_mov_b64_e32 v[62:63], v[66:67]
	s_waitcnt vmcnt(0)
	v_fmac_f64_e32 v[90:91], v[102:103], v[80:81]
	v_fmac_f64_e32 v[44:45], v[104:105], v[80:81]
	scratch_load_dwordx4 v[78:81], off, off offset:704 ; 16-byte Folded Reload
	v_mov_b64_e32 v[64:65], v[68:69]
	v_mov_b64_e32 v[104:105], v[28:29]
	s_waitcnt vmcnt(0)
	v_fma_f64 v[52:53], v[70:71], v[78:79], 0
	scratch_load_dwordx4 v[68:71], off, off offset:272 ; 16-byte Folded Reload
	v_fma_f64 v[82:83], v[72:73], v[78:79], 0
	v_fma_f64 v[92:93], v[22:23], v[78:79], 0
	v_fmac_f64_e32 v[52:53], v[40:41], v[80:81]
	v_fmac_f64_e32 v[82:83], v[42:43], v[80:81]
	v_mov_b64_e32 v[42:43], v[86:87]
	s_waitcnt vmcnt(0)
	v_fma_f64 v[72:73], v[68:69], v[78:79], 0
	scratch_load_dwordx4 v[66:69], off, off offset:160 ; 16-byte Folded Reload
	v_fma_f64 v[102:103], v[70:71], v[78:79], 0
	v_fma_f64 v[70:71], v[18:19], v[78:79], 0
	;; [unrolled: 1-line block ×3, first 2 shown]
	s_waitcnt vmcnt(0)
	v_fmac_f64_e32 v[72:73], v[66:67], v[80:81]
	v_fmac_f64_e32 v[102:103], v[68:69], v[80:81]
	scratch_load_dwordx4 v[66:69], off, off offset:464 ; 16-byte Folded Reload
	s_waitcnt vmcnt(0)
	v_fmac_f64_e32 v[92:93], v[66:67], v[80:81]
	v_fma_f64 v[66:67], v[24:25], v[78:79], 0
	scratch_load_dwordx4 v[22:25], off, off offset:320 ; 16-byte Folded Reload
	v_fmac_f64_e32 v[66:67], v[68:69], v[80:81]
	s_waitcnt vmcnt(0)
	v_fmac_f64_e32 v[18:19], v[24:25], v[80:81]
	v_mov_b64_e32 v[98:99], v[18:19]
	scratch_load_dwordx4 v[18:21], off, off offset:784 ; 16-byte Folded Reload
	v_fmac_f64_e32 v[70:71], v[22:23], v[80:81]
	scratch_load_dwordx4 v[22:25], off, off offset:192 ; 16-byte Folded Reload
	scratch_load_dwordx4 v[78:81], off, off offset:144 ; 16-byte Folded Reload
	s_waitcnt vmcnt(2)
	v_fmac_f64_e32 v[52:53], v[116:117], v[18:19]
	v_fmac_f64_e32 v[82:83], v[118:119], v[18:19]
	s_waitcnt vmcnt(1)
	v_fmac_f64_e32 v[52:53], v[22:23], v[20:21]
	v_fmac_f64_e32 v[82:83], v[24:25], v[20:21]
	scratch_load_dwordx4 v[22:25], off, off ; 16-byte Folded Reload
	v_fmac_f64_e32 v[92:93], v[12:13], v[18:19]
	v_fmac_f64_e32 v[66:67], v[14:15], v[18:19]
	scratch_load_dwordx4 v[12:15], off, off offset:32 ; 16-byte Folded Reload
	v_mov_b64_e32 v[118:119], v[6:7]
	scratch_load_dwordx4 v[4:7], off, off offset:64 ; 16-byte Folded Reload
	v_fmac_f64_e32 v[92:93], v[30:31], v[20:21]
	v_fmac_f64_e32 v[66:67], v[32:33], v[20:21]
	v_mov_b64_e32 v[30:31], v[26:27]
	s_waitcnt vmcnt(2)
	v_fmac_f64_e32 v[72:73], v[22:23], v[18:19]
	v_fmac_f64_e32 v[102:103], v[24:25], v[18:19]
	v_fmac_f64_e32 v[72:73], v[78:79], v[20:21]
	s_waitcnt vmcnt(1)
	v_fmac_f64_e32 v[70:71], v[12:13], v[18:19]
	v_fmac_f64_e32 v[98:99], v[14:15], v[18:19]
	;; [unrolled: 1-line block ×3, first 2 shown]
	s_waitcnt vmcnt(0)
	v_fmac_f64_e32 v[70:71], v[4:5], v[20:21]
	v_fmac_f64_e32 v[98:99], v[6:7], v[20:21]
	scratch_load_dwordx4 v[78:81], off, off offset:48 ; 16-byte Folded Reload
	scratch_load_dwordx4 v[4:7], off, off offset:768 ; 16-byte Folded Reload
	;; [unrolled: 1-line block ×3, first 2 shown]
	s_waitcnt vmcnt(1)
	v_fmac_f64_e32 v[52:53], v[8:9], v[4:5]
	v_fmac_f64_e32 v[82:83], v[10:11], v[4:5]
	;; [unrolled: 1-line block ×5, first 2 shown]
	scratch_load_dwordx2 v[62:63], off, off offset:1368 ; 8-byte Folded Reload
	s_waitcnt vmcnt(1)
	v_fmac_f64_e32 v[52:53], v[18:19], v[6:7]
	v_fmac_f64_e32 v[82:83], v[20:21], v[6:7]
	;; [unrolled: 1-line block ×3, first 2 shown]
	scratch_load_dwordx2 v[64:65], off, off offset:1376 ; 8-byte Folded Reload
	scratch_load_dwordx4 v[18:21], off, off offset:208 ; 16-byte Folded Reload
	scratch_load_dwordx2 v[48:49], off, off offset:1336 ; 8-byte Folded Reload
	scratch_load_dwordx4 v[8:11], off, off offset:16 ; 16-byte Folded Reload
	scratch_load_dwordx2 v[40:41], off, off offset:1344 ; 8-byte Folded Reload
	s_waitcnt vmcnt(5)
	v_mov_b64_e32 v[22:23], v[62:63]
	s_waitcnt vmcnt(3)
	v_fmac_f64_e32 v[92:93], v[18:19], v[4:5]
	v_fmac_f64_e32 v[66:67], v[20:21], v[4:5]
	s_waitcnt vmcnt(1)
	v_fmac_f64_e32 v[92:93], v[8:9], v[6:7]
	v_fmac_f64_e32 v[66:67], v[10:11], v[6:7]
	scratch_load_dwordx4 v[8:11], off, off offset:80 ; 16-byte Folded Reload
	scratch_load_dwordx2 v[68:69], off, off offset:1360 ; 8-byte Folded Reload
	scratch_load_dwordx4 v[124:127], off, off offset:96 ; 16-byte Folded Reload
	scratch_load_dwordx4 v[18:21], off, off offset:128 ; 16-byte Folded Reload
	scratch_load_dwordx2 v[86:87], off, off offset:1352 ; 8-byte Folded Reload
	v_mov_b64_e32 v[28:29], v[48:49]
	s_waitcnt vmcnt(3)
	v_mov_b64_e32 v[26:27], v[68:69]
	v_fmac_f64_e32 v[70:71], v[8:9], v[4:5]
	v_fmac_f64_e32 v[98:99], v[10:11], v[4:5]
	s_waitcnt vmcnt(1)
	v_fmac_f64_e32 v[70:71], v[18:19], v[6:7]
	v_fmac_f64_e32 v[98:99], v[20:21], v[6:7]
	scratch_load_dwordx4 v[4:7], off, off offset:512 ; 16-byte Folded Reload
	scratch_load_dwordx4 v[8:11], off, off offset:304 ; 16-byte Folded Reload
	;; [unrolled: 1-line block ×3, first 2 shown]
	s_waitcnt vmcnt(3)
	v_mov_b64_e32 v[24:25], v[86:87]
	s_waitcnt vmcnt(2)
	v_fmac_f64_e32 v[52:53], v[78:79], v[4:5]
	v_fmac_f64_e32 v[82:83], v[80:81], v[4:5]
	s_waitcnt vmcnt(1)
	v_fmac_f64_e32 v[52:53], v[8:9], v[6:7]
	v_fmac_f64_e32 v[82:83], v[10:11], v[6:7]
	scratch_load_dwordx4 v[8:11], off, off offset:288 ; 16-byte Folded Reload
	s_waitcnt vmcnt(1)
	v_fmac_f64_e32 v[72:73], v[18:19], v[4:5]
	v_fmac_f64_e32 v[102:103], v[20:21], v[4:5]
	scratch_load_dwordx4 v[18:21], off, off offset:256 ; 16-byte Folded Reload
	;; [unrolled: 4-line block ×3, first 2 shown]
	s_waitcnt vmcnt(1)
	v_fmac_f64_e32 v[70:71], v[18:19], v[4:5]
	v_fmac_f64_e32 v[98:99], v[20:21], v[4:5]
	v_mov_b64_e32 v[20:21], v[64:65]
	s_waitcnt vmcnt(0)
	v_fmac_f64_e32 v[92:93], v[8:9], v[4:5]
	v_fmac_f64_e32 v[66:67], v[10:11], v[4:5]
	scratch_load_dwordx2 v[116:117], off, off offset:1384 ; 8-byte Folded Reload
	scratch_load_dwordx4 v[8:11], off, off offset:352 ; 16-byte Folded Reload
	v_fmac_f64_e32 v[92:93], v[124:125], v[6:7]
	v_fmac_f64_e32 v[66:67], v[126:127], v[6:7]
	s_waitcnt vmcnt(1)
	v_mov_b64_e32 v[4:5], v[116:117]
	s_waitcnt vmcnt(0)
	v_fmac_f64_e32 v[70:71], v[8:9], v[6:7]
	scratch_load_dwordx2 v[8:9], off, off offset:1392 ; 8-byte Folded Reload
	v_fmac_f64_e32 v[98:99], v[10:11], v[6:7]
	scratch_load_dwordx2 v[10:11], off, off offset:1400 ; 8-byte Folded Reload
	s_waitcnt vmcnt(1)
	v_mov_b64_e32 v[18:19], v[8:9]
	scratch_store_dwordx2 off, v[98:99], off offset:1448 ; 8-byte Folded Spill
	v_mov_b64_e32 v[98:99], v[0:1]
	v_mov_b64_e32 v[0:1], v[40:41]
	scratch_store_dwordx2 off, v[118:119], off offset:1320 ; 8-byte Folded Spill
	scratch_store_dwordx2 off, v[2:3], off offset:1328 ; 8-byte Folded Spill
	s_cbranch_vccnz .LBB0_30
; %bb.29:                               ;   in Loop: Header=BB0_21 Depth=1
	scratch_load_dwordx2 v[6:7], off, off offset:1264 ; 8-byte Folded Reload
	scratch_load_dwordx2 v[2:3], off, off offset:1256 ; 8-byte Folded Reload
	v_mov_b64_e32 v[118:119], v[42:43]
	v_mov_b64_e32 v[42:43], v[30:31]
	s_waitcnt vmcnt(1)
	v_fma_f64 v[18:19], v[8:9], v[6:7], 0
	s_waitcnt vmcnt(0)
	v_fmac_f64_e32 v[18:19], v[10:11], v[2:3]
	scratch_load_dwordx2 v[10:11], off, off offset:1280 ; 8-byte Folded Reload
	scratch_load_dwordx2 v[0:1], off, off offset:1552 ; 8-byte Folded Reload
	v_fma_f64 v[4:5], v[6:7], v[116:117], 0
	v_fma_f64 v[20:21], v[6:7], v[64:65], 0
	;; [unrolled: 1-line block ×5, first 2 shown]
	s_waitcnt vmcnt(0)
	v_fmac_f64_e32 v[18:19], v[0:1], v[10:11]
	scratch_load_dwordx2 v[8:9], off, off offset:1272 ; 8-byte Folded Reload
	scratch_load_dwordx2 v[0:1], off, off offset:1560 ; 8-byte Folded Reload
	;; [unrolled: 1-line block ×6, first 2 shown]
	s_waitcnt vmcnt(4)
	v_fmac_f64_e32 v[18:19], v[0:1], v[8:9]
	scratch_load_dwordx2 v[0:1], off, off offset:1528 ; 8-byte Folded Reload
	s_waitcnt vmcnt(0)
	v_fmac_f64_e32 v[4:5], v[2:3], v[0:1]
	scratch_load_dwordx2 v[0:1], off, off offset:1536 ; 8-byte Folded Reload
	;; [unrolled: 3-line block ×6, first 2 shown]
	scratch_load_dwordx2 v[12:13], off, off offset:1288 ; 8-byte Folded Reload
	v_fmac_f64_e32 v[18:19], v[100:101], v[14:15]
	v_fmac_f64_e32 v[4:5], v[14:15], v[84:85]
	s_waitcnt vmcnt(1)
	v_fmac_f64_e32 v[20:21], v[8:9], v[0:1]
	scratch_load_dwordx2 v[0:1], off, off offset:1488 ; 8-byte Folded Reload
	v_fmac_f64_e32 v[20:21], v[14:15], v[60:61]
	s_waitcnt vmcnt(1)
	v_fmac_f64_e32 v[18:19], v[94:95], v[12:13]
	v_fmac_f64_e32 v[4:5], v[12:13], v[106:107]
	;; [unrolled: 1-line block ×6, first 2 shown]
	s_waitcnt vmcnt(0)
	v_fmac_f64_e32 v[22:23], v[2:3], v[0:1]
	scratch_load_dwordx2 v[0:1], off, off offset:1496 ; 8-byte Folded Reload
	s_waitcnt vmcnt(0)
	v_fmac_f64_e32 v[22:23], v[10:11], v[0:1]
	scratch_load_dwordx2 v[0:1], off, off offset:1504 ; 8-byte Folded Reload
	;; [unrolled: 3-line block ×3, first 2 shown]
	v_fmac_f64_e32 v[22:23], v[14:15], v[112:113]
	v_fmac_f64_e32 v[22:23], v[12:13], v[114:115]
	;; [unrolled: 1-line block ×3, first 2 shown]
	s_waitcnt vmcnt(0)
	v_fmac_f64_e32 v[24:25], v[2:3], v[0:1]
	scratch_load_dwordx2 v[0:1], off, off offset:1472 ; 8-byte Folded Reload
	s_waitcnt vmcnt(0)
	v_fmac_f64_e32 v[24:25], v[10:11], v[0:1]
	scratch_load_dwordx2 v[0:1], off, off offset:1480 ; 8-byte Folded Reload
	v_fmac_f64_e32 v[24:25], v[8:9], v[88:89]
	s_waitcnt vmcnt(0)
	v_fmac_f64_e32 v[24:25], v[14:15], v[0:1]
	scratch_load_dwordx2 v[0:1], off, off offset:1440 ; 8-byte Folded Reload
	v_fmac_f64_e32 v[24:25], v[12:13], v[122:123]
	v_fmac_f64_e32 v[24:25], v[32:33], v[96:97]
	s_waitcnt vmcnt(0)
	v_fmac_f64_e32 v[26:27], v[2:3], v[0:1]
	scratch_load_dwordx2 v[0:1], off, off offset:1456 ; 8-byte Folded Reload
	s_waitcnt vmcnt(0)
	v_fmac_f64_e32 v[26:27], v[10:11], v[0:1]
	scratch_load_dwordx2 v[0:1], off, off offset:1320 ; 8-byte Folded Reload
	s_waitcnt vmcnt(0)
	v_fmac_f64_e32 v[26:27], v[8:9], v[0:1]
	v_fma_f64 v[0:1], v[6:7], v[40:41], 0
	v_fmac_f64_e32 v[0:1], v[2:3], v[42:43]
	v_fmac_f64_e32 v[0:1], v[10:11], v[118:119]
	;; [unrolled: 1-line block ×3, first 2 shown]
	v_fma_f64 v[28:29], v[6:7], v[48:49], 0
	v_fmac_f64_e32 v[28:29], v[2:3], v[104:105]
	scratch_load_dwordx2 v[2:3], off, off offset:1448 ; 8-byte Folded Reload
	v_fmac_f64_e32 v[28:29], v[10:11], v[56:57]
	v_fmac_f64_e32 v[28:29], v[8:9], v[38:39]
	;; [unrolled: 1-line block ×11, first 2 shown]
	scratch_load_dwordx4 v[12:15], off, off offset:32 ; 16-byte Folded Reload
	v_fmac_f64_e32 v[18:19], v[52:53], v[30:31]
	v_fmac_f64_e32 v[4:5], v[30:31], v[82:83]
	;; [unrolled: 1-line block ×7, first 2 shown]
	s_waitcnt vmcnt(1)
	v_fmac_f64_e32 v[28:29], v[30:31], v[2:3]
	v_mov_b64_e32 v[30:31], v[42:43]
	v_mov_b64_e32 v[42:43], v[118:119]
	scratch_load_dwordx2 v[2:3], off, off offset:1328 ; 8-byte Folded Reload
	scratch_load_dwordx2 v[118:119], off, off offset:1320 ; 8-byte Folded Reload
.LBB0_30:                               ;   in Loop: Header=BB0_21 Depth=1
	s_nop 0
	scratch_store_dwordx2 off, v[52:53], off offset:1976 ; 8-byte Folded Spill
	scratch_store_dwordx2 off, v[54:55], off offset:1968 ; 8-byte Folded Spill
	;; [unrolled: 1-line block ×36, first 2 shown]
	v_div_scale_f64 v[30:31], s[18:19], v[16:17], v[16:17], 1.0
	v_rcp_f64_e32 v[40:41], v[30:31]
	s_waitcnt vmcnt(38)
	v_mov_b64_e32 v[116:117], v[14:15]
	v_mov_b64_e32 v[114:115], v[12:13]
	v_fma_f64 v[42:43], -v[30:31], v[40:41], 1.0
	v_fmac_f64_e32 v[40:41], v[40:41], v[42:43]
	v_fma_f64 v[42:43], -v[30:31], v[40:41], 1.0
	v_fmac_f64_e32 v[40:41], v[40:41], v[42:43]
	v_div_scale_f64 v[42:43], vcc, 1.0, v[16:17], 1.0
	v_mul_f64 v[44:45], v[42:43], v[40:41]
	v_fma_f64 v[30:31], -v[30:31], v[44:45], v[42:43]
	s_nop 1
	v_div_fmas_f64 v[30:31], v[30:31], v[40:41], v[44:45]
	v_div_fixup_f64 v[16:17], v[30:31], v[16:17], 1.0
	v_mul_f64 v[122:123], v[16:17], v[18:19]
	v_mul_f64 v[66:67], v[16:17], v[28:29]
	;; [unrolled: 1-line block ×8, first 2 shown]
	scratch_store_dwordx2 off, v[122:123], off offset:1424 ; 8-byte Folded Spill
	scratch_store_dwordx2 off, v[4:5], off offset:1568 ; 8-byte Folded Spill
	;; [unrolled: 1-line block ×8, first 2 shown]
	scratch_load_dwordx4 v[16:19], off, off offset:320 ; 16-byte Folded Reload
	scratch_load_dwordx4 v[52:55], off, off offset:336 ; 16-byte Folded Reload
	;; [unrolled: 1-line block ×7, first 2 shown]
	scratch_load_dwordx4 v[40:43], off, off ; 16-byte Folded Reload
	scratch_load_dwordx4 v[26:29], off, off offset:64 ; 16-byte Folded Reload
	scratch_load_dwordx4 v[44:47], off, off offset:240 ; 16-byte Folded Reload
	scratch_load_dwordx4 v[48:51], off, off offset:256 ; 16-byte Folded Reload
	scratch_load_dwordx4 v[92:95], off, off offset:304 ; 16-byte Folded Reload
	scratch_load_dwordx4 v[74:77], off, off offset:288 ; 16-byte Folded Reload
	s_and_b64 vcc, exec, s[2:3]
	scratch_load_dwordx4 v[70:73], off, off offset:224 ; 16-byte Folded Reload
	scratch_load_dwordx4 v[56:59], off, off offset:480 ; 16-byte Folded Reload
	;; [unrolled: 1-line block ×5, first 2 shown]
	s_waitcnt vmcnt(17)
	v_mov_b64_e32 v[38:39], v[18:19]
	scratch_load_dwordx4 v[18:21], off, off offset:192 ; 16-byte Folded Reload
	s_waitcnt vmcnt(16)
	v_mov_b64_e32 v[2:3], v[6:7]
	scratch_store_dwordx2 off, v[2:3], off offset:1000 ; 8-byte Folded Spill
	v_mov_b64_e32 v[2:3], v[8:9]
	scratch_store_dwordx2 off, v[2:3], off offset:640 ; 8-byte Folded Spill
	s_waitcnt vmcnt(17)
	v_mov_b64_e32 v[2:3], v[22:23]
	scratch_store_dwordx2 off, v[2:3], off offset:1176 ; 8-byte Folded Spill
	v_mov_b64_e32 v[2:3], v[24:25]
	scratch_store_dwordx2 off, v[2:3], off offset:848 ; 8-byte Folded Spill
	s_waitcnt vmcnt(18)
	v_mov_b64_e32 v[2:3], v[110:111]
	scratch_store_dwordx2 off, v[2:3], off offset:800 ; 8-byte Folded Spill
	v_mov_b64_e32 v[2:3], v[112:113]
	scratch_store_dwordx2 off, v[2:3], off offset:528 ; 8-byte Folded Spill
	v_mov_b64_e32 v[2:3], v[16:17]
	scratch_store_dwordx2 off, v[2:3], off offset:1072 ; 8-byte Folded Spill
	s_waitcnt vmcnt(20)
	v_mov_b64_e32 v[2:3], v[34:35]
	scratch_store_dwordx2 off, v[2:3], off offset:1024 ; 8-byte Folded Spill
	v_mov_b64_e32 v[2:3], v[36:37]
	scratch_store_dwordx2 off, v[2:3], off offset:976 ; 8-byte Folded Spill
	s_waitcnt vmcnt(20)
	v_mov_b64_e32 v[2:3], v[40:41]
	scratch_store_dwordx2 off, v[2:3], off offset:912 ; 8-byte Folded Spill
	v_mov_b64_e32 v[2:3], v[42:43]
	scratch_store_dwordx2 off, v[2:3], off offset:608 ; 8-byte Folded Spill
	;; [unrolled: 2-line block ×6, first 2 shown]
	s_waitcnt vmcnt(20)
	v_mov_b64_e32 v[14:15], v[70:71]
	scratch_store_dwordx2 off, v[14:15], off offset:720 ; 8-byte Folded Spill
	v_mov_b64_e32 v[14:15], v[72:73]
	scratch_store_dwordx2 off, v[14:15], off offset:512 ; 8-byte Folded Spill
	;; [unrolled: 2-line block ×4, first 2 shown]
	scratch_load_dwordx4 v[10:13], off, off offset:448 ; 16-byte Folded Reload
	s_waitcnt vmcnt(20)
	v_mov_b64_e32 v[102:103], v[20:21]
	v_mov_b64_e32 v[2:3], v[18:19]
	;; [unrolled: 1-line block ×3, first 2 shown]
	scratch_load_dwordx4 v[16:19], off, off offset:144 ; 16-byte Folded Reload
	s_nop 0
	scratch_store_dwordx2 off, v[2:3], off offset:704 ; 8-byte Folded Spill
	v_mov_b64_e32 v[2:3], v[20:21]
	scratch_store_dwordx2 off, v[2:3], off offset:656 ; 8-byte Folded Spill
	s_waitcnt vmcnt(2)
	v_mov_b64_e32 v[2:3], v[16:17]
	scratch_store_dwordx2 off, v[2:3], off offset:1184 ; 8-byte Folded Spill
	v_mov_b64_e32 v[2:3], v[18:19]
	scratch_load_dwordx4 v[16:19], off, off offset:384 ; 16-byte Folded Reload
	s_nop 0
	scratch_store_dwordx2 off, v[2:3], off offset:864 ; 8-byte Folded Spill
	s_waitcnt vmcnt(1)
	v_mov_b64_e32 v[2:3], v[16:17]
	scratch_store_dwordx2 off, v[2:3], off offset:832 ; 8-byte Folded Spill
	v_mov_b64_e32 v[2:3], v[18:19]
	scratch_store_dwordx2 off, v[2:3], off offset:784 ; 8-byte Folded Spill
	v_mov_b64_e32 v[2:3], v[26:27]
	v_mov_b64_e32 v[16:17], v[28:29]
	scratch_load_dwordx4 v[26:29], off, off offset:80 ; 16-byte Folded Reload
	scratch_load_dwordx4 v[18:21], off, off offset:16 ; 16-byte Folded Reload
	s_waitcnt vmcnt(1)
	v_mov_b64_e32 v[108:109], v[26:27]
	s_waitcnt vmcnt(0)
	v_mov_b64_e32 v[14:15], v[18:19]
	scratch_store_dwordx2 off, v[14:15], off offset:1248 ; 8-byte Folded Spill
	v_mov_b64_e32 v[14:15], v[20:21]
	scratch_load_dwordx4 v[18:21], off, off offset:128 ; 16-byte Folded Reload
	v_mov_b64_e32 v[26:27], v[74:75]
	scratch_store_dwordx2 off, v[14:15], off offset:560 ; 8-byte Folded Spill
	scratch_store_dwordx2 off, v[2:3], off offset:1200 ; 8-byte Folded Spill
	v_mov_b64_e32 v[2:3], v[10:11]
	scratch_store_dwordx2 off, v[2:3], off offset:1040 ; 8-byte Folded Spill
	v_mov_b64_e32 v[2:3], v[12:13]
	;; [unrolled: 2-line block ×10, first 2 shown]
	scratch_store_dwordx2 off, v[26:27], off offset:1160 ; 8-byte Folded Spill
	s_waitcnt vmcnt(12)
	v_mov_b64_e32 v[14:15], v[18:19]
	scratch_store_dwordx2 off, v[14:15], off offset:1144 ; 8-byte Folded Spill
	v_mov_b64_e32 v[14:15], v[20:21]
	scratch_store_dwordx2 off, v[14:15], off offset:768 ; 8-byte Folded Spill
	;; [unrolled: 2-line block ×10, first 2 shown]
	v_mov_b64_e32 v[14:15], v[92:93]
	v_mov_b64_e32 v[18:19], v[78:79]
	scratch_store_dwordx2 off, v[14:15], off offset:1064 ; 8-byte Folded Spill
	v_mov_b64_e32 v[14:15], v[94:95]
	v_mov_b64_e32 v[20:21], v[80:81]
	scratch_store_dwordx2 off, v[14:15], off offset:1032 ; 8-byte Folded Spill
	;; [unrolled: 3-line block ×3, first 2 shown]
	s_cbranch_vccnz .LBB0_32
; %bb.31:                               ;   in Loop: Header=BB0_21 Depth=1
	scratch_load_dwordx2 v[14:15], off, off offset:1264 ; 8-byte Folded Reload
	scratch_load_dwordx2 v[26:27], off, off offset:1280 ; 8-byte Folded Reload
	;; [unrolled: 1-line block ×3, first 2 shown]
	v_mov_b64_e32 v[126:127], v[24:25]
	v_mov_b64_e32 v[124:125], v[22:23]
	scratch_load_dwordx4 v[78:81], off, off offset:144 ; 16-byte Folded Reload
	scratch_load_dwordx2 v[60:61], off, off offset:1296 ; 8-byte Folded Reload
	scratch_load_dwordx4 v[118:121], off, off offset:96 ; 16-byte Folded Reload
	s_waitcnt vmcnt(5)
	v_mul_f64 v[2:3], v[122:123], v[14:15]
	scratch_store_dwordx2 off, v[2:3], off offset:1424 ; 8-byte Folded Spill
	scratch_load_dwordx2 v[2:3], off, off offset:1256 ; 8-byte Folded Reload
	s_waitcnt vmcnt(0)
	v_fma_f64 v[16:17], -v[122:123], v[2:3], v[6:7]
	scratch_store_dwordx2 off, v[16:17], off offset:1000 ; 8-byte Folded Spill
	v_fma_f64 v[16:17], -v[122:123], v[26:27], v[34:35]
	scratch_store_dwordx2 off, v[16:17], off offset:1024 ; 8-byte Folded Spill
	scratch_load_dwordx2 v[16:17], off, off offset:1272 ; 8-byte Folded Reload
	s_waitcnt vmcnt(0)
	v_fma_f64 v[28:29], -v[122:123], v[16:17], v[100:101]
	scratch_store_dwordx2 off, v[28:29], off offset:704 ; 8-byte Folded Spill
	v_fma_f64 v[28:29], -v[122:123], v[60:61], v[10:11]
	;; [unrolled: 6-line block ×3, first 2 shown]
	scratch_store_dwordx2 off, v[30:31], off offset:1056 ; 8-byte Folded Spill
	scratch_load_dwordx2 v[30:31], off, off offset:1304 ; 8-byte Folded Reload
	s_waitcnt vmcnt(0)
	v_fma_f64 v[38:39], -v[122:123], v[30:31], v[92:93]
	scratch_store_dwordx2 off, v[38:39], off offset:1064 ; 8-byte Folded Spill
	v_mul_f64 v[38:39], v[4:5], v[14:15]
	scratch_store_dwordx2 off, v[38:39], off offset:1568 ; 8-byte Folded Spill
	v_fma_f64 v[38:39], -v[4:5], v[2:3], v[8:9]
	scratch_store_dwordx2 off, v[38:39], off offset:640 ; 8-byte Folded Spill
	v_fma_f64 v[38:39], -v[4:5], v[26:27], v[36:37]
	;; [unrolled: 2-line block ×7, first 2 shown]
	scratch_store_dwordx2 off, v[38:39], off offset:1032 ; 8-byte Folded Spill
	v_mul_f64 v[38:39], v[0:1], v[14:15]
	scratch_store_dwordx2 off, v[38:39], off offset:1592 ; 8-byte Folded Spill
	v_fma_f64 v[38:39], -v[0:1], v[2:3], v[22:23]
	scratch_store_dwordx2 off, v[38:39], off offset:1176 ; 8-byte Folded Spill
	v_fma_f64 v[38:39], -v[0:1], v[26:27], v[40:41]
	;; [unrolled: 2-line block ×7, first 2 shown]
	scratch_store_dwordx2 off, v[38:39], off offset:672 ; 8-byte Folded Spill
	v_mul_f64 v[38:39], v[32:33], v[14:15]
	scratch_store_dwordx2 off, v[38:39], off offset:1576 ; 8-byte Folded Spill
	v_fma_f64 v[38:39], -v[32:33], v[2:3], v[24:25]
	scratch_store_dwordx2 off, v[38:39], off offset:848 ; 8-byte Folded Spill
	v_fma_f64 v[38:39], -v[32:33], v[26:27], v[42:43]
	v_mov_b64_e32 v[42:43], v[20:21]
	v_mov_b64_e32 v[40:41], v[18:19]
	scratch_load_dwordx4 v[18:21], off, off offset:384 ; 16-byte Folded Reload
	v_mov_b64_e32 v[22:23], v[100:101]
	scratch_store_dwordx2 off, v[38:39], off offset:608 ; 8-byte Folded Spill
	v_fma_f64 v[38:39], -v[32:33], v[16:17], v[80:81]
	scratch_load_dwordx4 v[78:81], off, off offset:16 ; 16-byte Folded Reload
	v_mov_b64_e32 v[24:25], v[102:103]
	scratch_store_dwordx2 off, v[38:39], off offset:864 ; 8-byte Folded Spill
	v_fma_f64 v[38:39], -v[32:33], v[60:61], v[58:59]
	scratch_store_dwordx2 off, v[38:39], off offset:1168 ; 8-byte Folded Spill
	v_fma_f64 v[38:39], -v[32:33], v[28:29], v[64:65]
	;; [unrolled: 2-line block ×4, first 2 shown]
	scratch_store_dwordx2 off, v[38:39], off offset:1192 ; 8-byte Folded Spill
	v_mul_f64 v[38:39], v[104:105], v[14:15]
	scratch_store_dwordx2 off, v[38:39], off offset:1408 ; 8-byte Folded Spill
	v_fma_f64 v[38:39], -v[104:105], v[2:3], v[110:111]
	scratch_store_dwordx2 off, v[38:39], off offset:800 ; 8-byte Folded Spill
	v_fma_f64 v[38:39], -v[104:105], v[26:27], v[52:53]
	scratch_store_dwordx2 off, v[38:39], off offset:816 ; 8-byte Folded Spill
	v_mov_b64_e32 v[102:103], v[98:99]
	v_mov_b64_e32 v[100:101], v[96:97]
	s_waitcnt vmcnt(10)
	v_fma_f64 v[38:39], -v[104:105], v[16:17], v[18:19]
	scratch_store_dwordx2 off, v[38:39], off offset:832 ; 8-byte Folded Spill
	v_fma_f64 v[38:39], -v[104:105], v[60:61], v[96:97]
	scratch_store_dwordx2 off, v[38:39], off offset:592 ; 8-byte Folded Spill
	s_waitcnt vmcnt(10)
	v_fma_f64 v[38:39], -v[104:105], v[28:29], v[78:79]
	scratch_store_dwordx2 off, v[38:39], off offset:1248 ; 8-byte Folded Spill
	v_fma_f64 v[38:39], -v[104:105], v[106:107], v[44:45]
	scratch_store_dwordx2 off, v[38:39], off offset:624 ; 8-byte Folded Spill
	;; [unrolled: 2-line block ×3, first 2 shown]
	v_mul_f64 v[38:39], v[90:91], v[14:15]
	scratch_store_dwordx2 off, v[38:39], off offset:1584 ; 8-byte Folded Spill
	v_fma_f64 v[38:39], -v[90:91], v[2:3], v[112:113]
	scratch_store_dwordx2 off, v[38:39], off offset:528 ; 8-byte Folded Spill
	v_fma_f64 v[38:39], -v[90:91], v[26:27], v[54:55]
	;; [unrolled: 2-line block ×4, first 2 shown]
	v_mov_b64_e32 v[98:99], v[88:89]
	scratch_store_dwordx2 off, v[38:39], off offset:544 ; 8-byte Folded Spill
	v_fma_f64 v[38:39], -v[90:91], v[28:29], v[80:81]
	v_mov_b64_e32 v[96:97], v[86:87]
	scratch_load_dwordx4 v[86:89], off, off offset:320 ; 16-byte Folded Reload
	scratch_load_dwordx4 v[78:81], off, off offset:64 ; 16-byte Folded Reload
	v_fma_f64 v[18:19], -v[68:69], v[26:27], v[114:115]
	scratch_store_dwordx2 off, v[18:19], off offset:1048 ; 8-byte Folded Spill
	scratch_store_dwordx2 off, v[38:39], off offset:560 ; 8-byte Folded Spill
	v_fma_f64 v[38:39], -v[90:91], v[106:107], v[46:47]
	scratch_store_dwordx2 off, v[38:39], off offset:576 ; 8-byte Folded Spill
	v_fma_f64 v[38:39], -v[90:91], v[30:31], v[120:121]
	scratch_store_dwordx2 off, v[38:39], off offset:1160 ; 8-byte Folded Spill
	v_mul_f64 v[38:39], v[68:69], v[14:15]
	scratch_store_dwordx2 off, v[38:39], off offset:1240 ; 8-byte Folded Spill
	v_mul_f64 v[14:15], v[66:67], v[14:15]
	scratch_load_dwordx4 v[118:121], off, off offset:80 ; 16-byte Folded Reload
	s_waitcnt vmcnt(7)
	v_fma_f64 v[38:39], -v[68:69], v[2:3], v[86:87]
	s_waitcnt vmcnt(6)
	v_fma_f64 v[18:19], -v[68:69], v[16:17], v[78:79]
	scratch_store_dwordx2 off, v[18:19], off offset:1200 ; 8-byte Folded Spill
	scratch_load_dwordx4 v[18:21], off, off offset:128 ; 16-byte Folded Reload
	v_fma_f64 v[78:79], -v[68:69], v[30:31], v[96:97]
	scratch_store_dwordx2 off, v[38:39], off offset:1072 ; 8-byte Folded Spill
	scratch_store_dwordx2 off, v[14:15], off offset:1232 ; 8-byte Folded Spill
	v_fma_f64 v[16:17], -v[66:67], v[16:17], v[80:81]
	s_waitcnt vmcnt(2)
	v_fma_f64 v[38:39], -v[68:69], v[28:29], v[18:19]
	v_fma_f64 v[14:15], -v[66:67], v[28:29], v[20:21]
	v_mov_b64_e32 v[18:19], v[40:41]
	v_mov_b64_e32 v[20:21], v[42:43]
	scratch_load_dwordx4 v[40:43], off, off ; 16-byte Folded Reload
	v_fma_f64 v[108:109], -v[68:69], v[60:61], v[118:119]
	scratch_store_dwordx2 off, v[38:39], off offset:1144 ; 8-byte Folded Spill
	v_fma_f64 v[38:39], -v[68:69], v[106:107], v[48:49]
	scratch_store_dwordx2 off, v[38:39], off offset:1016 ; 8-byte Folded Spill
	v_fma_f64 v[38:39], -v[66:67], v[2:3], v[88:89]
	v_mov_b64_e32 v[86:87], v[96:97]
	v_mov_b64_e32 v[88:89], v[98:99]
	v_mov_b64_e32 v[96:97], v[100:101]
	v_mov_b64_e32 v[98:99], v[102:103]
	v_mov_b64_e32 v[102:103], v[24:25]
	v_mov_b64_e32 v[100:101], v[22:23]
	v_mov_b64_e32 v[22:23], v[124:125]
	v_fma_f64 v[2:3], -v[66:67], v[26:27], v[116:117]
	scratch_store_dwordx2 off, v[14:15], off offset:768 ; 8-byte Folded Spill
	v_fma_f64 v[14:15], -v[66:67], v[106:107], v[50:51]
	v_mov_b64_e32 v[24:25], v[126:127]
	scratch_store_dwordx2 off, v[2:3], off offset:752 ; 8-byte Folded Spill
	v_fma_f64 v[2:3], -v[66:67], v[60:61], v[120:121]
	scratch_store_dwordx2 off, v[14:15], off offset:1008 ; 8-byte Folded Spill
	v_fma_f64 v[14:15], -v[66:67], v[30:31], v[88:89]
	scratch_store_dwordx2 off, v[14:15], off offset:496 ; 8-byte Folded Spill
.LBB0_32:                               ;   in Loop: Header=BB0_21 Depth=1
	scratch_store_dwordx2 off, v[108:109], off offset:1224 ; 8-byte Folded Spill
	scratch_store_dwordx2 off, v[78:79], off offset:1208 ; 8-byte Folded Spill
	;; [unrolled: 1-line block ×4, first 2 shown]
	v_mov_b64_e32 v[26:27], v[110:111]
	v_mov_b64_e32 v[80:81], v[54:55]
	;; [unrolled: 1-line block ×4, first 2 shown]
	scratch_load_dwordx4 v[52:55], off, off offset:400 ; 16-byte Folded Reload
	scratch_load_dwordx4 v[106:109], off, off offset:1080 ; 16-byte Folded Reload
	;; [unrolled: 1-line block ×5, first 2 shown]
	s_add_i32 s21, s21, 1
	s_cmp_eq_u32 s20, s21
	s_waitcnt vmcnt(3)
	v_fma_f64 v[16:17], v[52:53], v[106:107], 0
	v_fmac_f64_e32 v[16:17], v[6:7], v[108:109]
	s_waitcnt vmcnt(2)
	v_fmac_f64_e32 v[16:17], v[34:35], v[110:111]
	v_fmac_f64_e32 v[16:17], v[100:101], v[112:113]
	s_waitcnt vmcnt(1)
	v_fmac_f64_e32 v[16:17], v[10:11], v[114:115]
	;; [unrolled: 3-line block ×3, first 2 shown]
	v_fma_f64 v[18:19], v[106:107], v[54:55], 0
	v_fmac_f64_e32 v[18:19], v[108:109], v[8:9]
	v_fmac_f64_e32 v[18:19], v[110:111], v[36:37]
	;; [unrolled: 1-line block ×4, first 2 shown]
	v_mov_b64_e32 v[10:11], v[48:49]
	v_mov_b64_e32 v[12:13], v[50:51]
	scratch_load_dwordx4 v[48:51], off, off offset:320 ; 16-byte Folded Reload
	scratch_load_dwordx4 v[6:9], off, off offset:272 ; 16-byte Folded Reload
	;; [unrolled: 1-line block ×3, first 2 shown]
	v_fmac_f64_e32 v[18:19], v[116:117], v[72:73]
	v_mov_b64_e32 v[72:73], v[46:47]
	v_fmac_f64_e32 v[18:19], v[118:119], v[20:21]
	v_mov_b64_e32 v[70:71], v[44:45]
	scratch_load_dwordx4 v[44:47], off, off offset:368 ; 16-byte Folded Reload
	v_fmac_f64_e32 v[16:17], v[92:93], v[120:121]
	v_fmac_f64_e32 v[18:19], v[120:121], v[94:95]
	s_waitcnt vmcnt(2)
	v_fma_f64 v[20:21], v[106:107], v[6:7], 0
	v_fmac_f64_e32 v[20:21], v[108:109], v[22:23]
	v_fma_f64 v[22:23], v[106:107], v[8:9], 0
	v_fmac_f64_e32 v[22:23], v[108:109], v[24:25]
	v_fmac_f64_e32 v[20:21], v[110:111], v[40:41]
	;; [unrolled: 1-line block ×3, first 2 shown]
	s_waitcnt vmcnt(1)
	v_fmac_f64_e32 v[20:21], v[112:113], v[34:35]
	v_fmac_f64_e32 v[22:23], v[112:113], v[36:37]
	scratch_load_dwordx4 v[34:37], off, off offset:384 ; 16-byte Folded Reload
	scratch_load_dwordx4 v[40:43], off, off offset:16 ; 16-byte Folded Reload
	v_fmac_f64_e32 v[20:21], v[114:115], v[56:57]
	v_fmac_f64_e32 v[22:23], v[114:115], v[58:59]
	scratch_load_dwordx4 v[56:59], off, off offset:96 ; 16-byte Folded Reload
	s_waitcnt vmcnt(3)
	v_fma_f64 v[24:25], v[106:107], v[44:45], 0
	v_fmac_f64_e32 v[24:25], v[108:109], v[26:27]
	v_fma_f64 v[26:27], v[106:107], v[46:47], 0
	v_fmac_f64_e32 v[26:27], v[108:109], v[28:29]
	v_fmac_f64_e32 v[24:25], v[110:111], v[78:79]
	;; [unrolled: 1-line block ×3, first 2 shown]
	scratch_load_dwordx4 v[78:81], off, off offset:32 ; 16-byte Folded Reload
	v_fmac_f64_e32 v[20:21], v[116:117], v[62:63]
	scratch_load_dwordx4 v[60:63], off, off offset:80 ; 16-byte Folded Reload
	v_fmac_f64_e32 v[22:23], v[116:117], v[64:65]
	v_fmac_f64_e32 v[20:21], v[118:119], v[82:83]
	;; [unrolled: 1-line block ×5, first 2 shown]
	s_waitcnt vmcnt(4)
	v_fmac_f64_e32 v[24:25], v[112:113], v[34:35]
	v_fmac_f64_e32 v[26:27], v[112:113], v[36:37]
	;; [unrolled: 1-line block ×4, first 2 shown]
	s_waitcnt vmcnt(3)
	v_fmac_f64_e32 v[24:25], v[116:117], v[40:41]
	v_fmac_f64_e32 v[26:27], v[116:117], v[42:43]
	scratch_load_dwordx4 v[40:43], off, off offset:736 ; 16-byte Folded Reload
	v_fmac_f64_e32 v[24:25], v[118:119], v[70:71]
	v_fmac_f64_e32 v[26:27], v[118:119], v[72:73]
	s_waitcnt vmcnt(3)
	v_fmac_f64_e32 v[24:25], v[120:121], v[56:57]
	v_fmac_f64_e32 v[26:27], v[120:121], v[58:59]
	scratch_load_dwordx4 v[56:59], off, off offset:64 ; 16-byte Folded Reload
	scratch_load_dwordx4 v[34:37], off, off offset:32 ; 16-byte Folded Reload
	;; [unrolled: 1-line block ×3, first 2 shown]
	s_waitcnt vmcnt(3)
	v_fma_f64 v[28:29], v[106:107], v[40:41], 0
	v_fmac_f64_e32 v[28:29], v[108:109], v[48:49]
	v_fmac_f64_e32 v[28:29], v[110:111], v[78:79]
	v_fma_f64 v[30:31], v[106:107], v[42:43], 0
	v_fmac_f64_e32 v[30:31], v[108:109], v[50:51]
	s_waitcnt vmcnt(2)
	v_fmac_f64_e32 v[28:29], v[112:113], v[56:57]
	v_fmac_f64_e32 v[28:29], v[114:115], v[60:61]
	s_waitcnt vmcnt(0)
	v_fmac_f64_e32 v[28:29], v[116:117], v[70:71]
	v_fmac_f64_e32 v[28:29], v[118:119], v[10:11]
	scratch_load_dwordx2 v[10:11], off, off offset:1688 ; 8-byte Folded Reload
	v_fmac_f64_e32 v[30:31], v[110:111], v[36:37]
	v_fmac_f64_e32 v[30:31], v[112:113], v[58:59]
	;; [unrolled: 1-line block ×7, first 2 shown]
	v_mov_b64_e32 v[108:109], v[2:3]
	s_waitcnt vmcnt(0)
	v_fmac_f64_e32 v[16:17], v[10:11], v[122:123]
	v_fmac_f64_e32 v[18:19], v[10:11], v[4:5]
	;; [unrolled: 1-line block ×8, first 2 shown]
	s_set_gpr_idx_on s23, gpr_idx(SRC0)
	v_mov_b32_e32 v1, v17
	v_mov_b32_e32 v0, v16
	s_set_gpr_idx_off
	scratch_load_dwordx2 v[2:3], off, off offset:1600 ; 8-byte Folded Reload
	s_waitcnt vmcnt(0)
	v_add_f64 v[0:1], v[2:3], v[0:1]
	scratch_store_dwordx2 off, v[108:109], off offset:1416 ; 8-byte Folded Spill
	s_set_gpr_idx_on s23, gpr_idx(DST)
	v_mov_b32_e32 v16, v0
	v_mov_b32_e32 v17, v1
	s_set_gpr_idx_off
	scratch_store_dwordx4 off, v[16:19], off offset:1080 ; 16-byte Folded Spill
	s_nop 0
	scratch_store_dwordx4 off, v[20:23], off offset:1096 ; 16-byte Folded Spill
	scratch_store_dwordx4 off, v[24:27], off offset:1112 ; 16-byte Folded Spill
	;; [unrolled: 1-line block ×3, first 2 shown]
	scratch_load_dwordx2 v[0:1], off, off offset:1232 ; 8-byte Folded Reload
	s_nop 0
	scratch_load_dwordx2 v[18:19], off, off offset:1392 ; 8-byte Folded Reload
	s_waitcnt vmcnt(1)
	v_add_f64 v[24:25], v[42:43], -v[0:1]
	scratch_load_dwordx2 v[0:1], off, off offset:1240 ; 8-byte Folded Reload
	s_waitcnt vmcnt(0)
	v_add_f64 v[114:115], v[40:41], -v[0:1]
	;; [unrolled: 3-line block ×3, first 2 shown]
	scratch_load_dwordx2 v[0:1], off, off offset:1408 ; 8-byte Folded Reload
	v_mov_b64_e32 v[78:79], v[2:3]
	scratch_store_dwordx2 off, v[24:25], off offset:1232 ; 8-byte Folded Spill
	s_waitcnt vmcnt(1)
	v_add_f64 v[10:11], v[44:45], -v[0:1]
	scratch_load_dwordx2 v[0:1], off, off offset:1576 ; 8-byte Folded Reload
	v_mov_b64_e32 v[126:127], v[10:11]
	s_waitcnt vmcnt(0)
	v_add_f64 v[8:9], v[8:9], -v[0:1]
	scratch_load_dwordx2 v[0:1], off, off offset:1592 ; 8-byte Folded Reload
	v_mov_b64_e32 v[122:123], v[8:9]
	s_waitcnt vmcnt(0)
	v_add_f64 v[90:91], v[6:7], -v[0:1]
	scratch_load_dwordx2 v[0:1], off, off offset:1568 ; 8-byte Folded Reload
	s_waitcnt vmcnt(0)
	v_add_f64 v[20:21], v[54:55], -v[0:1]
	scratch_load_dwordx2 v[0:1], off, off offset:1424 ; 8-byte Folded Reload
	v_mov_b64_e32 v[124:125], v[20:21]
	s_waitcnt vmcnt(0)
	v_add_f64 v[22:23], v[52:53], -v[0:1]
	v_mov_b64_e32 v[36:37], v[22:23]
	scratch_store_dwordx2 off, v[36:37], off offset:1424 ; 8-byte Folded Spill
	v_fma_f64 v[0:1], v[18:19], v[22:23], 0
	scratch_load_dwordx2 v[22:23], off, off offset:1000 ; 8-byte Folded Reload
	scratch_load_dwordx2 v[28:29], off, off offset:1400 ; 8-byte Folded Reload
	s_waitcnt vmcnt(1)
	v_mov_b64_e32 v[44:45], v[22:23]
	scratch_store_dwordx2 off, v[44:45], off offset:1000 ; 8-byte Folded Spill
	s_waitcnt vmcnt(1)
	v_fmac_f64_e32 v[0:1], v[28:29], v[22:23]
	scratch_load_dwordx2 v[22:23], off, off offset:1024 ; 8-byte Folded Reload
	scratch_load_dwordx2 v[32:33], off, off offset:1552 ; 8-byte Folded Reload
	s_waitcnt vmcnt(1)
	v_mov_b64_e32 v[70:71], v[22:23]
	s_waitcnt vmcnt(0)
	v_fmac_f64_e32 v[0:1], v[32:33], v[22:23]
	scratch_load_dwordx2 v[22:23], off, off offset:704 ; 8-byte Folded Reload
	scratch_load_dwordx2 v[34:35], off, off offset:1560 ; 8-byte Folded Reload
	s_waitcnt vmcnt(1)
	v_mov_b64_e32 v[74:75], v[22:23]
	s_waitcnt vmcnt(0)
	v_fmac_f64_e32 v[0:1], v[34:35], v[22:23]
	scratch_load_dwordx2 v[22:23], off, off offset:1040 ; 8-byte Folded Reload
	scratch_load_dwordx2 v[40:41], off, off offset:1864 ; 8-byte Folded Reload
	;; [unrolled: 1-line block ×4, first 2 shown]
	s_waitcnt vmcnt(3)
	v_mov_b64_e32 v[76:77], v[22:23]
	s_waitcnt vmcnt(1)
	v_mov_b64_e32 v[42:43], v[96:97]
	scratch_store_dwordx2 off, v[42:43], off offset:720 ; 8-byte Folded Spill
	scratch_load_dwordx2 v[104:105], off, off offset:1056 ; 8-byte Folded Reload
	scratch_load_dwordx2 v[82:83], off, off offset:1968 ; 8-byte Folded Reload
	;; [unrolled: 1-line block ×4, first 2 shown]
	v_fmac_f64_e32 v[0:1], v[40:41], v[22:23]
	s_waitcnt vmcnt(5)
	v_fmac_f64_e32 v[0:1], v[68:69], v[96:97]
	scratch_load_dwordx2 v[58:59], off, off offset:912 ; 8-byte Folded Reload
	scratch_load_dwordx2 v[4:5], off, off offset:672 ; 8-byte Folded Reload
	;; [unrolled: 1-line block ×25, first 2 shown]
	s_waitcnt vmcnt(27)
	v_fmac_f64_e32 v[0:1], v[82:83], v[104:105]
	s_waitcnt vmcnt(25)
	v_fmac_f64_e32 v[0:1], v[94:95], v[116:117]
	scratch_store_dwordx2 off, v[0:1], off offset:1744 ; 8-byte Folded Spill
	v_fma_f64 v[0:1], v[18:19], v[20:21], 0
	scratch_load_dwordx2 v[20:21], off, off offset:640 ; 8-byte Folded Reload
	s_waitcnt vmcnt(12)
	v_mov_b64_e32 v[106:107], v[6:7]
	scratch_store_dwordx2 off, v[12:13], off offset:984 ; 8-byte Folded Spill
	scratch_store_dwordx2 off, v[62:63], off offset:800 ; 8-byte Folded Spill
	;; [unrolled: 1-line block ×5, first 2 shown]
	s_waitcnt vmcnt(13)
	scratch_store_dwordx2 off, v[80:81], off offset:784 ; 8-byte Folded Spill
	scratch_store_dwordx2 off, v[22:23], off offset:544 ; 8-byte Folded Spill
	;; [unrolled: 1-line block ×4, first 2 shown]
	s_waitcnt vmcnt(14)
	scratch_store_dwordx2 off, v[72:73], off offset:1016 ; 8-byte Folded Spill
	scratch_store_dwordx2 off, v[74:75], off offset:704 ; 8-byte Folded Spill
	;; [unrolled: 1-line block ×4, first 2 shown]
	s_waitcnt vmcnt(13)
	v_fmac_f64_e32 v[0:1], v[28:29], v[20:21]
	v_mov_b64_e32 v[48:49], v[20:21]
	scratch_load_dwordx2 v[20:21], off, off offset:976 ; 8-byte Folded Reload
	s_waitcnt vmcnt(0)
	v_fmac_f64_e32 v[0:1], v[32:33], v[20:21]
	v_mov_b64_e32 v[52:53], v[20:21]
	scratch_load_dwordx2 v[20:21], off, off offset:656 ; 8-byte Folded Reload
	;; [unrolled: 4-line block ×3, first 2 shown]
	v_fmac_f64_e32 v[0:1], v[40:41], v[16:17]
	scratch_store_dwordx2 off, v[48:49], off offset:640 ; 8-byte Folded Spill
	scratch_store_dwordx2 off, v[52:53], off offset:976 ; 8-byte Folded Spill
	scratch_store_dwordx2 off, v[102:103], off offset:656 ; 8-byte Folded Spill
	s_waitcnt vmcnt(3)
	v_fmac_f64_e32 v[0:1], v[68:69], v[20:21]
	v_mov_b64_e32 v[92:93], v[20:21]
	scratch_load_dwordx2 v[20:21], off, off offset:1032 ; 8-byte Folded Reload
	v_fmac_f64_e32 v[0:1], v[82:83], v[14:15]
	scratch_store_dwordx2 off, v[92:93], off offset:512 ; 8-byte Folded Spill
	s_waitcnt vmcnt(1)
	v_fmac_f64_e32 v[0:1], v[94:95], v[20:21]
	scratch_store_dwordx2 off, v[0:1], off offset:1752 ; 8-byte Folded Spill
	v_fma_f64 v[0:1], v[18:19], v[90:91], 0
	v_fmac_f64_e32 v[0:1], v[28:29], v[6:7]
	scratch_load_dwordx2 v[6:7], off, off offset:1184 ; 8-byte Folded Reload
	v_fmac_f64_e32 v[0:1], v[32:33], v[58:59]
	scratch_store_dwordx2 off, v[20:21], off offset:1032 ; 8-byte Folded Spill
	s_waitcnt vmcnt(1)
	v_fmac_f64_e32 v[0:1], v[34:35], v[6:7]
	v_mov_b64_e32 v[88:89], v[6:7]
	scratch_load_dwordx2 v[6:7], off, off offset:864 ; 8-byte Folded Reload
	v_fmac_f64_e32 v[0:1], v[40:41], v[118:119]
	v_fmac_f64_e32 v[0:1], v[68:69], v[50:51]
	;; [unrolled: 1-line block ×4, first 2 shown]
	scratch_load_dwordx2 v[4:5], off, off offset:848 ; 8-byte Folded Reload
	s_waitcnt vmcnt(1)
	v_mov_b64_e32 v[84:85], v[6:7]
	scratch_store_dwordx2 off, v[0:1], off offset:1760 ; 8-byte Folded Spill
	v_fma_f64 v[0:1], v[18:19], v[8:9], 0
	scratch_load_dwordx2 v[8:9], off, off offset:1072 ; 8-byte Folded Reload
	s_waitcnt vmcnt(2)
	v_fmac_f64_e32 v[0:1], v[28:29], v[4:5]
	scratch_load_dwordx2 v[4:5], off, off offset:608 ; 8-byte Folded Reload
	s_waitcnt vmcnt(0)
	v_fmac_f64_e32 v[0:1], v[32:33], v[4:5]
	v_fmac_f64_e32 v[0:1], v[34:35], v[6:7]
	scratch_load_dwordx2 v[6:7], off, off offset:816 ; 8-byte Folded Reload
	scratch_load_dwordx2 v[4:5], off, off offset:592 ; 8-byte Folded Reload
	v_fmac_f64_e32 v[0:1], v[40:41], v[96:97]
	v_fmac_f64_e32 v[0:1], v[68:69], v[56:57]
	;; [unrolled: 1-line block ×4, first 2 shown]
	scratch_store_dwordx2 off, v[0:1], off offset:1768 ; 8-byte Folded Spill
	v_fma_f64 v[0:1], v[18:19], v[10:11], 0
	v_fmac_f64_e32 v[0:1], v[28:29], v[62:63]
	scratch_load_dwordx2 v[10:11], off, off offset:752 ; 8-byte Folded Reload
	s_waitcnt vmcnt(3)
	v_fmac_f64_e32 v[0:1], v[32:33], v[6:7]
	v_fmac_f64_e32 v[0:1], v[34:35], v[30:31]
	s_waitcnt vmcnt(2)
	v_fmac_f64_e32 v[0:1], v[40:41], v[4:5]
	scratch_load_dwordx2 v[4:5], off, off offset:1248 ; 8-byte Folded Reload
	v_mov_b64_e32 v[120:121], v[6:7]
	v_fma_f64 v[6:7], v[18:19], v[2:3], 0
	v_fmac_f64_e32 v[6:7], v[28:29], v[54:55]
	v_fmac_f64_e32 v[6:7], v[32:33], v[64:65]
	;; [unrolled: 1-line block ×4, first 2 shown]
	v_fma_f64 v[2:3], v[18:19], v[114:115], 0
	v_fmac_f64_e32 v[2:3], v[28:29], v[8:9]
	s_waitcnt vmcnt(1)
	v_mov_b64_e32 v[110:111], v[10:11]
	scratch_store_dwordx2 off, v[110:111], off offset:752 ; 8-byte Folded Spill
	s_waitcnt vmcnt(1)
	v_fmac_f64_e32 v[0:1], v[68:69], v[4:5]
	scratch_load_dwordx2 v[4:5], off, off offset:624 ; 8-byte Folded Reload
	s_waitcnt vmcnt(0)
	v_fmac_f64_e32 v[0:1], v[82:83], v[4:5]
	scratch_load_dwordx2 v[4:5], off, off offset:880 ; 8-byte Folded Reload
	s_waitcnt vmcnt(0)
	v_fmac_f64_e32 v[0:1], v[94:95], v[4:5]
	scratch_store_dwordx2 off, v[0:1], off offset:1776 ; 8-byte Folded Spill
	scratch_load_dwordx2 v[0:1], off, off offset:560 ; 8-byte Folded Reload
	s_waitcnt vmcnt(0)
	v_fmac_f64_e32 v[6:7], v[68:69], v[0:1]
	scratch_load_dwordx2 v[0:1], off, off offset:1160 ; 8-byte Folded Reload
	v_fmac_f64_e32 v[6:7], v[82:83], v[86:87]
	scratch_load_dwordx2 v[4:5], off, off offset:1208 ; 8-byte Folded Reload
	s_waitcnt vmcnt(1)
	v_fmac_f64_e32 v[6:7], v[94:95], v[0:1]
	scratch_store_dwordx2 off, v[6:7], off offset:1848 ; 8-byte Folded Spill
	scratch_load_dwordx2 v[6:7], off, off offset:1048 ; 8-byte Folded Reload
	v_mov_b64_e32 v[26:27], v[0:1]
	v_fma_f64 v[0:1], v[18:19], v[24:25], 0
	scratch_load_dwordx2 v[18:19], off, off offset:1528 ; 8-byte Folded Reload
	v_mov_b64_e32 v[24:25], v[106:107]
	s_waitcnt vmcnt(1)
	v_fmac_f64_e32 v[2:3], v[32:33], v[6:7]
	v_fmac_f64_e32 v[2:3], v[34:35], v[38:39]
	;; [unrolled: 1-line block ×6, first 2 shown]
	scratch_store_dwordx2 off, v[2:3], off offset:1856 ; 8-byte Folded Spill
	scratch_load_dwordx2 v[2:3], off, off offset:1216 ; 8-byte Folded Reload
	s_waitcnt vmcnt(0)
	v_fmac_f64_e32 v[0:1], v[28:29], v[2:3]
	v_fmac_f64_e32 v[0:1], v[32:33], v[10:11]
	scratch_load_dwordx2 v[10:11], off, off offset:768 ; 8-byte Folded Reload
	scratch_load_dwordx2 v[28:29], off, off offset:1008 ; 8-byte Folded Reload
	v_fmac_f64_e32 v[0:1], v[34:35], v[98:99]
	v_fmac_f64_e32 v[0:1], v[40:41], v[108:109]
	scratch_load_dwordx2 v[108:109], off, off offset:1536 ; 8-byte Folded Reload
	scratch_load_dwordx2 v[32:33], off, off offset:848 ; 8-byte Folded Reload
	;; [unrolled: 1-line block ×4, first 2 shown]
	s_waitcnt vmcnt(5)
	v_fmac_f64_e32 v[0:1], v[68:69], v[10:11]
	scratch_load_dwordx2 v[10:11], off, off offset:496 ; 8-byte Folded Reload
	s_waitcnt vmcnt(5)
	v_fmac_f64_e32 v[0:1], v[82:83], v[28:29]
	scratch_load_dwordx2 v[82:83], off, off offset:1960 ; 8-byte Folded Reload
	scratch_load_dwordx2 v[68:69], off, off offset:1952 ; 8-byte Folded Reload
	s_waitcnt vmcnt(2)
	v_fmac_f64_e32 v[0:1], v[94:95], v[10:11]
	scratch_load_dwordx2 v[10:11], off, off offset:1384 ; 8-byte Folded Reload
	v_mov_b64_e32 v[94:95], v[120:121]
	scratch_store_dwordx2 off, v[0:1], off offset:1392 ; 8-byte Folded Spill
	scratch_store_dwordx2 off, v[94:95], off offset:816 ; 8-byte Folded Spill
	;; [unrolled: 1-line block ×3, first 2 shown]
	s_waitcnt vmcnt(3)
	v_fma_f64 v[0:1], v[10:11], v[36:37], 0
	scratch_load_dwordx2 v[36:37], off, off offset:1696 ; 8-byte Folded Reload
	v_fmac_f64_e32 v[0:1], v[18:19], v[44:45]
	v_fmac_f64_e32 v[0:1], v[108:109], v[70:71]
	;; [unrolled: 1-line block ×3, first 2 shown]
	v_mov_b64_e32 v[44:45], v[56:57]
	s_waitcnt vmcnt(0)
	v_fmac_f64_e32 v[0:1], v[36:37], v[76:77]
	v_fmac_f64_e32 v[0:1], v[40:41], v[42:43]
	v_fmac_f64_e32 v[0:1], v[68:69], v[104:105]
	v_fmac_f64_e32 v[0:1], v[82:83], v[116:117]
	scratch_store_dwordx2 off, v[0:1], off offset:1864 ; 8-byte Folded Spill
	v_fma_f64 v[0:1], v[10:11], v[124:125], 0
	v_fmac_f64_e32 v[0:1], v[18:19], v[48:49]
	v_fmac_f64_e32 v[0:1], v[108:109], v[52:53]
	;; [unrolled: 1-line block ×7, first 2 shown]
	scratch_store_dwordx2 off, v[0:1], off offset:1872 ; 8-byte Folded Spill
	v_fma_f64 v[0:1], v[10:11], v[90:91], 0
	v_fmac_f64_e32 v[0:1], v[18:19], v[106:107]
	v_fmac_f64_e32 v[0:1], v[108:109], v[58:59]
	;; [unrolled: 1-line block ×6, first 2 shown]
	scratch_load_dwordx2 v[12:13], off, off offset:672 ; 8-byte Folded Reload
	v_mov_b64_e32 v[42:43], v[124:125]
	v_mov_b64_e32 v[124:125], v[122:123]
	;; [unrolled: 1-line block ×4, first 2 shown]
	scratch_store_dwordx2 off, v[124:125], off offset:2008 ; 8-byte Folded Spill
	v_mov_b64_e32 v[102:103], v[84:85]
	v_mov_b64_e32 v[92:93], v[50:51]
	;; [unrolled: 1-line block ×6, first 2 shown]
	scratch_load_dwordx2 v[14:15], off, off offset:624 ; 8-byte Folded Reload
	s_waitcnt vmcnt(2)
	v_fmac_f64_e32 v[0:1], v[82:83], v[12:13]
	scratch_store_dwordx2 off, v[0:1], off offset:1400 ; 8-byte Folded Spill
	v_fma_f64 v[0:1], v[10:11], v[122:123], 0
	v_fmac_f64_e32 v[0:1], v[18:19], v[32:33]
	v_fmac_f64_e32 v[0:1], v[108:109], v[34:35]
	;; [unrolled: 1-line block ×7, first 2 shown]
	scratch_store_dwordx2 off, v[0:1], off offset:1552 ; 8-byte Folded Spill
	v_fma_f64 v[0:1], v[10:11], v[126:127], 0
	scratch_load_dwordx2 v[56:57], off, off offset:592 ; 8-byte Folded Reload
	v_fmac_f64_e32 v[0:1], v[18:19], v[62:63]
	scratch_load_dwordx2 v[62:63], off, off offset:1248 ; 8-byte Folded Reload
	scratch_load_dwordx2 v[100:101], off, off offset:1232 ; 8-byte Folded Reload
	v_fmac_f64_e32 v[0:1], v[108:109], v[120:121]
	scratch_load_dwordx2 v[120:121], off, off offset:880 ; 8-byte Folded Reload
	v_mov_b64_e32 v[122:123], v[126:127]
	scratch_load_dwordx2 v[126:127], off, off offset:560 ; 8-byte Folded Reload
	v_fmac_f64_e32 v[0:1], v[112:113], v[30:31]
	scratch_store_dwordx2 off, v[122:123], off offset:1408 ; 8-byte Folded Spill
	v_mov_b64_e32 v[84:85], v[78:79]
	v_mov_b64_e32 v[46:47], v[48:49]
	;; [unrolled: 1-line block ×6, first 2 shown]
	s_waitcnt vmcnt(5)
	v_fmac_f64_e32 v[0:1], v[36:37], v[56:57]
	s_waitcnt vmcnt(4)
	v_fmac_f64_e32 v[0:1], v[40:41], v[62:63]
	v_fmac_f64_e32 v[0:1], v[68:69], v[14:15]
	s_waitcnt vmcnt(2)
	v_fmac_f64_e32 v[0:1], v[82:83], v[120:121]
	scratch_store_dwordx2 off, v[0:1], off offset:1560 ; 8-byte Folded Spill
	v_fma_f64 v[0:1], v[10:11], v[78:79], 0
	v_fmac_f64_e32 v[0:1], v[18:19], v[54:55]
	v_fmac_f64_e32 v[0:1], v[108:109], v[64:65]
	;; [unrolled: 1-line block ×4, first 2 shown]
	s_waitcnt vmcnt(2)
	v_fmac_f64_e32 v[0:1], v[40:41], v[126:127]
	v_fmac_f64_e32 v[0:1], v[68:69], v[86:87]
	;; [unrolled: 1-line block ×3, first 2 shown]
	scratch_store_dwordx2 off, v[0:1], off offset:1568 ; 8-byte Folded Spill
	v_fma_f64 v[0:1], v[10:11], v[114:115], 0
	v_fmac_f64_e32 v[0:1], v[18:19], v[8:9]
	v_fmac_f64_e32 v[0:1], v[108:109], v[6:7]
	;; [unrolled: 1-line block ×7, first 2 shown]
	scratch_store_dwordx2 off, v[0:1], off offset:1576 ; 8-byte Folded Spill
	v_fma_f64 v[0:1], v[10:11], v[100:101], 0
	v_fmac_f64_e32 v[0:1], v[18:19], v[2:3]
	scratch_load_dwordx2 v[4:5], off, off offset:1416 ; 8-byte Folded Reload
	v_fmac_f64_e32 v[0:1], v[108:109], v[110:111]
	scratch_load_dwordx2 v[110:111], off, off offset:768 ; 8-byte Folded Reload
	v_fmac_f64_e32 v[0:1], v[112:113], v[98:99]
	v_mov_b64_e32 v[86:87], v[26:27]
	v_mov_b64_e32 v[26:27], v[42:43]
	;; [unrolled: 1-line block ×7, first 2 shown]
	s_waitcnt vmcnt(1)
	v_fmac_f64_e32 v[0:1], v[36:37], v[4:5]
	v_mov_b64_e32 v[36:37], v[86:87]
	s_waitcnt vmcnt(0)
	v_fmac_f64_e32 v[0:1], v[40:41], v[110:111]
	scratch_load_dwordx2 v[40:41], off, off offset:496 ; 8-byte Folded Reload
	v_fmac_f64_e32 v[0:1], v[68:69], v[28:29]
	v_mov_b64_e32 v[86:87], v[114:115]
	s_waitcnt vmcnt(0)
	v_fmac_f64_e32 v[0:1], v[82:83], v[40:41]
	scratch_store_dwordx2 off, v[0:1], off offset:1384 ; 8-byte Folded Spill
	scratch_load_dwordx2 v[2:3], off, off offset:1376 ; 8-byte Folded Reload
	scratch_load_dwordx2 v[78:79], off, off offset:1424 ; 8-byte Folded Reload
	;; [unrolled: 1-line block ×7, first 2 shown]
	v_mov_b64_e32 v[82:83], v[70:71]
	scratch_store_dwordx2 off, v[82:83], off offset:1024 ; 8-byte Folded Spill
	s_waitcnt vmcnt(6)
	v_fma_f64 v[0:1], v[2:3], v[78:79], 0
	s_waitcnt vmcnt(4)
	v_fmac_f64_e32 v[0:1], v[6:7], v[108:109]
	s_waitcnt vmcnt(3)
	v_fmac_f64_e32 v[0:1], v[8:9], v[70:71]
	;; [unrolled: 2-line block ×3, first 2 shown]
	v_fmac_f64_e32 v[0:1], v[38:39], v[76:77]
	scratch_load_dwordx2 v[60:61], off, off offset:1920 ; 8-byte Folded Reload
	scratch_load_dwordx2 v[76:77], off, off offset:720 ; 8-byte Folded Reload
	;; [unrolled: 1-line block ×9, first 2 shown]
	s_waitcnt vmcnt(7)
	v_fmac_f64_e32 v[0:1], v[60:61], v[76:77]
	s_waitcnt vmcnt(6)
	v_fmac_f64_e32 v[0:1], v[70:71], v[104:105]
	;; [unrolled: 2-line block ×3, first 2 shown]
	scratch_store_dwordx2 off, v[0:1], off offset:1528 ; 8-byte Folded Spill
	v_fma_f64 v[0:1], v[2:3], v[26:27], 0
	s_waitcnt vmcnt(4)
	v_fmac_f64_e32 v[0:1], v[6:7], v[50:51]
	v_fmac_f64_e32 v[0:1], v[8:9], v[54:55]
	s_waitcnt vmcnt(3)
	v_fmac_f64_e32 v[0:1], v[18:19], v[64:65]
	v_fmac_f64_e32 v[0:1], v[38:39], v[16:17]
	;; [unrolled: 3-line block ×3, first 2 shown]
	v_fmac_f64_e32 v[0:1], v[74:75], v[20:21]
	scratch_store_dwordx2 off, v[66:67], off offset:1056 ; 8-byte Folded Spill
	scratch_store_dwordx2 off, v[116:117], off offset:1064 ; 8-byte Folded Spill
	;; [unrolled: 1-line block ×4, first 2 shown]
	scratch_load_dwordx2 v[58:59], off, off offset:984 ; 8-byte Folded Reload
	scratch_load_dwordx2 v[112:113], off, off offset:832 ; 8-byte Folded Reload
	;; [unrolled: 1-line block ×3, first 2 shown]
	v_mov_b64_e32 v[20:21], v[102:103]
	scratch_load_dwordx2 v[102:103], off, off offset:800 ; 8-byte Folded Reload
	v_fma_f64 v[0:1], v[2:3], v[90:91], 0
	v_fmac_f64_e32 v[0:1], v[6:7], v[24:25]
	v_fmac_f64_e32 v[0:1], v[8:9], v[42:43]
	;; [unrolled: 1-line block ×5, first 2 shown]
	scratch_load_dwordx2 v[10:11], off, off offset:544 ; 8-byte Folded Reload
	scratch_load_dwordx2 v[104:105], off, off offset:576 ; 8-byte Folded Reload
	;; [unrolled: 1-line block ×6, first 2 shown]
	v_mov_b64_e32 v[114:115], v[64:65]
	scratch_store_dwordx2 off, v[46:47], off offset:1184 ; 8-byte Folded Spill
	scratch_store_dwordx2 off, v[48:49], off offset:944 ; 8-byte Folded Spill
	;; [unrolled: 1-line block ×8, first 2 shown]
	s_waitcnt vmcnt(17)
	v_fmac_f64_e32 v[0:1], v[70:71], v[58:59]
	v_fmac_f64_e32 v[0:1], v[74:75], v[12:13]
	scratch_store_dwordx2 off, v[0:1], off offset:1544 ; 8-byte Folded Spill
	v_fma_f64 v[0:1], v[2:3], v[124:125], 0
	v_fmac_f64_e32 v[0:1], v[6:7], v[32:33]
	v_fmac_f64_e32 v[0:1], v[8:9], v[34:35]
	;; [unrolled: 1-line block ×6, first 2 shown]
	v_mov_b64_e32 v[124:125], v[118:119]
	v_fmac_f64_e32 v[0:1], v[74:75], v[124:125]
	scratch_store_dwordx2 off, v[0:1], off offset:1584 ; 8-byte Folded Spill
	v_fma_f64 v[0:1], v[2:3], v[122:123], 0
	v_mov_b64_e32 v[122:123], v[84:85]
	scratch_load_dwordx2 v[84:85], off, off offset:528 ; 8-byte Folded Reload
	s_waitcnt vmcnt(17)
	v_fmac_f64_e32 v[0:1], v[6:7], v[102:103]
	scratch_load_dwordx2 v[118:119], off, off offset:1072 ; 8-byte Folded Reload
	v_fmac_f64_e32 v[0:1], v[8:9], v[94:95]
	v_fmac_f64_e32 v[0:1], v[18:19], v[112:113]
	;; [unrolled: 1-line block ×5, first 2 shown]
	scratch_load_dwordx2 v[14:15], off, off offset:1016 ; 8-byte Folded Reload
	scratch_load_dwordx2 v[12:13], off, off offset:1208 ; 8-byte Folded Reload
	;; [unrolled: 1-line block ×4, first 2 shown]
	v_fmac_f64_e32 v[0:1], v[74:75], v[120:121]
	scratch_store_dwordx2 off, v[0:1], off offset:1592 ; 8-byte Folded Spill
	v_fma_f64 v[0:1], v[2:3], v[122:123], 0
	s_waitcnt vmcnt(6)
	v_fmac_f64_e32 v[0:1], v[6:7], v[84:85]
	v_fmac_f64_e32 v[0:1], v[8:9], v[88:89]
	;; [unrolled: 1-line block ×7, first 2 shown]
	scratch_store_dwordx2 off, v[0:1], off offset:1688 ; 8-byte Folded Spill
	v_fma_f64 v[0:1], v[2:3], v[16:17], 0
	s_waitcnt vmcnt(6)
	v_fmac_f64_e32 v[0:1], v[6:7], v[118:119]
	v_fmac_f64_e32 v[0:1], v[8:9], v[96:97]
	;; [unrolled: 1-line block ×5, first 2 shown]
	s_waitcnt vmcnt(5)
	v_fmac_f64_e32 v[0:1], v[70:71], v[14:15]
	s_waitcnt vmcnt(4)
	v_fmac_f64_e32 v[0:1], v[74:75], v[12:13]
	v_mov_b64_e32 v[12:13], v[100:101]
	scratch_store_dwordx2 off, v[0:1], off offset:1696 ; 8-byte Folded Spill
	v_fma_f64 v[0:1], v[2:3], v[12:13], 0
	s_waitcnt vmcnt(4)
	v_fmac_f64_e32 v[0:1], v[6:7], v[34:35]
	s_waitcnt vmcnt(3)
	v_fmac_f64_e32 v[0:1], v[8:9], v[94:95]
	v_fmac_f64_e32 v[0:1], v[18:19], v[98:99]
	;; [unrolled: 1-line block ×6, first 2 shown]
	scratch_store_dwordx2 off, v[0:1], off offset:1328 ; 8-byte Folded Spill
	scratch_load_dwordx2 v[0:1], off, off offset:1368 ; 8-byte Folded Reload
	v_mov_b64_e32 v[100:101], v[4:5]
	scratch_load_dwordx2 v[2:3], off, off offset:1488 ; 8-byte Folded Reload
	scratch_load_dwordx2 v[6:7], off, off offset:1496 ; 8-byte Folded Reload
	;; [unrolled: 1-line block ×11, first 2 shown]
	v_mov_b64_e32 v[74:75], v[42:43]
	scratch_store_dwordx2 off, v[74:75], off offset:912 ; 8-byte Folded Spill
	scratch_store_dwordx2 off, v[56:57], off offset:592 ; 8-byte Folded Spill
	;; [unrolled: 1-line block ×3, first 2 shown]
	v_mov_b64_e32 v[110:111], v[104:105]
	scratch_load_dwordx2 v[18:19], off, off offset:880 ; 8-byte Folded Reload
	s_waitcnt vmcnt(15)
	v_fma_f64 v[4:5], v[0:1], v[78:79], 0
	s_waitcnt vmcnt(14)
	v_fmac_f64_e32 v[4:5], v[2:3], v[108:109]
	v_mov_b64_e32 v[108:109], v[76:77]
	scratch_load_dwordx2 v[76:77], off, off offset:1904 ; 8-byte Folded Reload
	s_waitcnt vmcnt(14)
	v_fmac_f64_e32 v[4:5], v[6:7], v[82:83]
	s_waitcnt vmcnt(12)
	v_fmac_f64_e32 v[4:5], v[8:9], v[40:41]
	;; [unrolled: 2-line block ×5, first 2 shown]
	scratch_load_dwordx2 v[66:67], off, off offset:992 ; 8-byte Folded Reload
	v_mov_b64_e32 v[82:83], v[22:23]
	scratch_store_dwordx2 off, v[82:83], off offset:1168 ; 8-byte Folded Spill
	s_waitcnt vmcnt(2)
	v_fmac_f64_e32 v[4:5], v[76:77], v[116:117]
	scratch_store_dwordx2 off, v[4:5], off offset:1376 ; 8-byte Folded Spill
	v_fma_f64 v[4:5], v[0:1], v[26:27], 0
	v_fmac_f64_e32 v[4:5], v[2:3], v[50:51]
	v_fmac_f64_e32 v[4:5], v[6:7], v[54:55]
	;; [unrolled: 1-line block ×3, first 2 shown]
	s_waitcnt vmcnt(2)
	v_fmac_f64_e32 v[4:5], v[38:39], v[66:67]
	v_fmac_f64_e32 v[4:5], v[60:61], v[80:81]
	;; [unrolled: 1-line block ×4, first 2 shown]
	scratch_store_dwordx2 off, v[4:5], off offset:1512 ; 8-byte Folded Spill
	v_fma_f64 v[4:5], v[0:1], v[90:91], 0
	v_fmac_f64_e32 v[4:5], v[2:3], v[24:25]
	v_fmac_f64_e32 v[4:5], v[6:7], v[42:43]
	;; [unrolled: 1-line block ×4, first 2 shown]
	v_mov_b64_e32 v[80:81], v[24:25]
	v_fmac_f64_e32 v[4:5], v[60:61], v[52:53]
	scratch_load_dwordx2 v[24:25], off, off offset:848 ; 8-byte Folded Reload
	v_mov_b64_e32 v[116:117], v[26:27]
	v_fmac_f64_e32 v[4:5], v[70:71], v[58:59]
	v_mov_b64_e32 v[26:27], v[58:59]
	scratch_load_dwordx2 v[58:59], off, off offset:608 ; 8-byte Folded Reload
	v_fmac_f64_e32 v[4:5], v[76:77], v[28:29]
	scratch_store_dwordx2 off, v[4:5], off offset:1520 ; 8-byte Folded Spill
	v_fma_f64 v[4:5], v[0:1], v[126:127], 0
	scratch_load_dwordx2 v[52:53], off, off offset:816 ; 8-byte Folded Reload
	v_mov_b64_e32 v[54:55], v[118:119]
	v_mov_b64_e32 v[50:51], v[96:97]
	;; [unrolled: 1-line block ×6, first 2 shown]
	s_waitcnt vmcnt(3)
	v_fmac_f64_e32 v[4:5], v[2:3], v[24:25]
	s_waitcnt vmcnt(2)
	v_fmac_f64_e32 v[4:5], v[6:7], v[58:59]
	v_fmac_f64_e32 v[4:5], v[8:9], v[20:21]
	;; [unrolled: 1-line block ×6, first 2 shown]
	scratch_store_dwordx2 off, v[4:5], off offset:1912 ; 8-byte Folded Spill
	scratch_load_dwordx2 v[4:5], off, off offset:1408 ; 8-byte Folded Reload
	s_waitcnt vmcnt(0)
	v_fma_f64 v[4:5], v[0:1], v[4:5], 0
	scratch_load_dwordx2 v[44:45], off, off offset:1208 ; 8-byte Folded Reload
	scratch_load_dwordx2 v[22:23], off, off offset:624 ; 8-byte Folded Reload
	v_fmac_f64_e32 v[4:5], v[2:3], v[102:103]
	v_fmac_f64_e32 v[4:5], v[6:7], v[52:53]
	;; [unrolled: 1-line block ×5, first 2 shown]
	scratch_load_dwordx2 v[30:31], off, off offset:1008 ; 8-byte Folded Reload
	v_mov_b64_e32 v[112:113], v[14:15]
	s_waitcnt vmcnt(2)
	v_mov_b64_e32 v[126:127], v[44:45]
	s_waitcnt vmcnt(1)
	v_fmac_f64_e32 v[4:5], v[70:71], v[22:23]
	v_fmac_f64_e32 v[4:5], v[76:77], v[18:19]
	v_fma_f64 v[18:19], v[0:1], v[122:123], 0
	v_fmac_f64_e32 v[18:19], v[2:3], v[84:85]
	v_fmac_f64_e32 v[18:19], v[6:7], v[88:89]
	v_fmac_f64_e32 v[18:19], v[8:9], v[106:107]
	v_fmac_f64_e32 v[18:19], v[38:39], v[10:11]
	v_fma_f64 v[10:11], v[0:1], v[16:17], 0
	v_fmac_f64_e32 v[10:11], v[2:3], v[54:55]
	v_fmac_f64_e32 v[10:11], v[6:7], v[50:51]
	;; [unrolled: 1-line block ×4, first 2 shown]
	scratch_store_dwordx2 off, v[4:5], off offset:1920 ; 8-byte Folded Spill
	scratch_load_dwordx2 v[4:5], off, off offset:560 ; 8-byte Folded Reload
	v_fmac_f64_e32 v[10:11], v[60:61], v[86:87]
	scratch_load_dwordx2 v[86:87], off, off offset:768 ; 8-byte Folded Reload
	scratch_load_dwordx2 v[34:35], off, off offset:496 ; 8-byte Folded Reload
	v_fma_f64 v[0:1], v[0:1], v[12:13], 0
	v_fmac_f64_e32 v[0:1], v[2:3], v[42:43]
	v_fmac_f64_e32 v[0:1], v[6:7], v[94:95]
	;; [unrolled: 1-line block ×6, first 2 shown]
	scratch_store_dwordx2 off, v[10:11], off offset:1936 ; 8-byte Folded Spill
	s_waitcnt vmcnt(3)
	v_fmac_f64_e32 v[18:19], v[60:61], v[4:5]
	v_fmac_f64_e32 v[18:19], v[70:71], v[104:105]
	s_waitcnt vmcnt(2)
	v_fmac_f64_e32 v[0:1], v[60:61], v[86:87]
	v_fmac_f64_e32 v[0:1], v[70:71], v[30:31]
	;; [unrolled: 1-line block ×3, first 2 shown]
	s_waitcnt vmcnt(1)
	v_fmac_f64_e32 v[0:1], v[76:77], v[34:35]
	scratch_store_dwordx2 off, v[18:19], off offset:1928 ; 8-byte Folded Spill
	scratch_store_dwordx2 off, v[0:1], off offset:1368 ; 8-byte Folded Spill
	scratch_load_dwordx2 v[0:1], off, off offset:1352 ; 8-byte Folded Reload
	s_nop 0
	scratch_load_dwordx2 v[2:3], off, off offset:1464 ; 8-byte Folded Reload
	scratch_load_dwordx2 v[90:91], off, off offset:1000 ; 8-byte Folded Reload
	;; [unrolled: 1-line block ×9, first 2 shown]
	v_mov_b64_e32 v[18:19], v[40:41]
	scratch_load_dwordx2 v[20:21], off, off offset:1840 ; 8-byte Folded Reload
	scratch_load_dwordx2 v[40:41], off, off offset:1064 ; 8-byte Folded Reload
	v_mov_b64_e32 v[104:105], v[120:121]
	scratch_load_dwordx2 v[84:85], off, off offset:640 ; 8-byte Folded Reload
	scratch_load_dwordx2 v[36:37], off, off offset:896 ; 8-byte Folded Reload
	;; [unrolled: 1-line block ×6, first 2 shown]
	v_mov_b64_e32 v[76:77], v[80:81]
	scratch_load_dwordx2 v[60:61], off, off offset:1184 ; 8-byte Folded Reload
	scratch_load_dwordx2 v[94:95], off, off offset:944 ; 8-byte Folded Reload
	v_mov_b64_e32 v[80:81], v[86:87]
	v_mov_b64_e32 v[86:87], v[62:63]
	scratch_load_dwordx2 v[100:101], off, off offset:1144 ; 8-byte Folded Reload
	scratch_load_dwordx2 v[96:97], off, off offset:784 ; 8-byte Folded Reload
	s_waitcnt vmcnt(21)
	v_fma_f64 v[6:7], v[0:1], v[78:79], 0
	s_waitcnt vmcnt(19)
	v_fmac_f64_e32 v[6:7], v[2:3], v[90:91]
	s_waitcnt vmcnt(17)
	v_fmac_f64_e32 v[6:7], v[8:9], v[64:65]
	;; [unrolled: 2-line block ×3, first 2 shown]
	scratch_store_dwordx2 off, v[76:77], off offset:1176 ; 8-byte Folded Spill
	s_waitcnt vmcnt(15)
	v_fmac_f64_e32 v[6:7], v[12:13], v[104:105]
	v_fmac_f64_e32 v[6:7], v[14:15], v[108:109]
	scratch_load_dwordx2 v[108:109], off, off offset:2000 ; 8-byte Folded Reload
	s_waitcnt vmcnt(14)
	v_fmac_f64_e32 v[6:7], v[16:17], v[106:107]
	s_waitcnt vmcnt(12)
	v_fmac_f64_e32 v[6:7], v[20:21], v[40:41]
	scratch_store_dwordx2 off, v[6:7], off offset:1888 ; 8-byte Folded Spill
	v_fma_f64 v[6:7], v[0:1], v[116:117], 0
	s_waitcnt vmcnt(12)
	v_fmac_f64_e32 v[6:7], v[2:3], v[84:85]
	s_waitcnt vmcnt(8)
	v_fmac_f64_e32 v[6:7], v[8:9], v[118:119]
	v_fmac_f64_e32 v[6:7], v[10:11], v[114:115]
	;; [unrolled: 1-line block ×3, first 2 shown]
	scratch_load_dwordx2 v[66:67], off, off offset:864 ; 8-byte Folded Reload
	scratch_load_dwordx2 v[114:115], off, off offset:544 ; 8-byte Folded Reload
	s_waitcnt vmcnt(9)
	v_fmac_f64_e32 v[6:7], v[14:15], v[68:69]
	v_fmac_f64_e32 v[6:7], v[16:17], v[72:73]
	v_fmac_f64_e32 v[6:7], v[20:21], v[32:33]
	scratch_store_dwordx2 off, v[6:7], off offset:1488 ; 8-byte Folded Spill
	scratch_load_dwordx2 v[6:7], off, off offset:960 ; 8-byte Folded Reload
	v_mov_b64_e32 v[72:73], v[98:99]
	s_waitcnt vmcnt(5)
	v_fma_f64 v[38:39], v[0:1], v[108:109], 0
	v_fmac_f64_e32 v[38:39], v[2:3], v[76:77]
	v_fmac_f64_e32 v[38:39], v[8:9], v[74:75]
	scratch_load_dwordx2 v[74:75], off, off offset:832 ; 8-byte Folded Reload
	v_fmac_f64_e32 v[38:39], v[10:11], v[60:61]
	v_fmac_f64_e32 v[38:39], v[12:13], v[94:95]
	s_waitcnt vmcnt(1)
	v_fmac_f64_e32 v[38:39], v[14:15], v[6:7]
	v_fmac_f64_e32 v[38:39], v[16:17], v[26:27]
	v_fma_f64 v[26:27], v[0:1], v[92:93], 0
	v_fmac_f64_e32 v[26:27], v[2:3], v[24:25]
	v_fmac_f64_e32 v[26:27], v[8:9], v[58:59]
	;; [unrolled: 1-line block ×4, first 2 shown]
	scratch_load_dwordx2 v[82:83], off, off offset:1408 ; 8-byte Folded Reload
	v_fmac_f64_e32 v[26:27], v[14:15], v[36:37]
	v_fmac_f64_e32 v[38:39], v[20:21], v[28:29]
	;; [unrolled: 1-line block ×3, first 2 shown]
	scratch_store_dwordx2 off, v[38:39], off offset:1496 ; 8-byte Folded Spill
	v_mov_b64_e32 v[38:39], v[24:25]
	v_fmac_f64_e32 v[26:27], v[20:21], v[124:125]
	scratch_store_dwordx2 off, v[26:27], off offset:1504 ; 8-byte Folded Spill
	v_mov_b64_e32 v[26:27], v[52:53]
	v_mov_b64_e32 v[58:59], v[106:107]
	;; [unrolled: 1-line block ×3, first 2 shown]
	s_waitcnt vmcnt(2)
	v_fma_f64 v[24:25], v[0:1], v[82:83], 0
	v_fmac_f64_e32 v[24:25], v[2:3], v[102:103]
	v_fmac_f64_e32 v[24:25], v[8:9], v[26:27]
	;; [unrolled: 1-line block ×6, first 2 shown]
	scratch_load_dwordx2 v[22:23], off, off offset:528 ; 8-byte Folded Reload
	scratch_load_dwordx2 v[56:57], off, off offset:1160 ; 8-byte Folded Reload
	;; [unrolled: 1-line block ×3, first 2 shown]
	v_fmac_f64_e32 v[24:25], v[20:21], v[120:121]
	scratch_store_dwordx2 off, v[24:25], off offset:1880 ; 8-byte Folded Spill
	v_fma_f64 v[24:25], v[0:1], v[122:123], 0
	s_waitcnt vmcnt(3)
	v_fmac_f64_e32 v[24:25], v[2:3], v[22:23]
	v_fmac_f64_e32 v[24:25], v[8:9], v[88:89]
	;; [unrolled: 1-line block ×5, first 2 shown]
	s_waitcnt vmcnt(1)
	v_fma_f64 v[4:5], v[0:1], v[62:63], 0
	v_fmac_f64_e32 v[4:5], v[2:3], v[54:55]
	v_fmac_f64_e32 v[4:5], v[8:9], v[50:51]
	;; [unrolled: 1-line block ×3, first 2 shown]
	scratch_load_dwordx2 v[48:49], off, off offset:1232 ; 8-byte Folded Reload
	scratch_load_dwordx2 v[54:55], off, off offset:1416 ; 8-byte Folded Reload
	v_fmac_f64_e32 v[24:25], v[16:17], v[110:111]
	scratch_load_dwordx2 v[110:111], off, off offset:752 ; 8-byte Folded Reload
	v_fmac_f64_e32 v[4:5], v[12:13], v[46:47]
	v_fmac_f64_e32 v[4:5], v[14:15], v[100:101]
	;; [unrolled: 1-line block ×4, first 2 shown]
	scratch_store_dwordx2 off, v[4:5], off offset:1896 ; 8-byte Folded Spill
	v_fmac_f64_e32 v[24:25], v[20:21], v[56:57]
	scratch_store_dwordx2 off, v[24:25], off offset:1904 ; 8-byte Folded Spill
	v_mov_b64_e32 v[88:89], v[80:81]
	s_waitcnt vmcnt(4)
	v_fma_f64 v[4:5], v[0:1], v[48:49], 0
	v_fmac_f64_e32 v[4:5], v[2:3], v[42:43]
	scratch_load_dwordx2 v[2:3], off, off offset:1360 ; 8-byte Folded Reload
	s_waitcnt vmcnt(3)
	v_fmac_f64_e32 v[4:5], v[8:9], v[110:111]
	v_fmac_f64_e32 v[4:5], v[10:11], v[98:99]
	;; [unrolled: 1-line block ×4, first 2 shown]
	scratch_load_dwordx2 v[10:11], off, off offset:1440 ; 8-byte Folded Reload
	scratch_load_dwordx2 v[12:13], off, off offset:1456 ; 8-byte Folded Reload
	v_fmac_f64_e32 v[4:5], v[16:17], v[30:31]
	v_fmac_f64_e32 v[4:5], v[20:21], v[34:35]
	scratch_load_dwordx2 v[16:17], off, off offset:1320 ; 8-byte Folded Reload
	scratch_load_dwordx2 v[14:15], off, off offset:1784 ; 8-byte Folded Reload
	v_mov_b64_e32 v[80:81], v[94:95]
	scratch_store_dwordx2 off, v[4:5], off offset:1352 ; 8-byte Folded Spill
	scratch_load_dwordx2 v[30:31], off, off offset:1792 ; 8-byte Folded Reload
	scratch_load_dwordx2 v[112:113], off, off offset:720 ; 8-byte Folded Reload
	;; [unrolled: 1-line block ×5, first 2 shown]
	v_mov_b64_e32 v[8:9], v[36:37]
	v_mov_b64_e32 v[36:37], v[74:75]
	;; [unrolled: 1-line block ×5, first 2 shown]
	scratch_load_dwordx2 v[50:51], off, off offset:1168 ; 8-byte Folded Reload
	s_waitcnt vmcnt(11)
	v_fma_f64 v[4:5], v[2:3], v[78:79], 0
	v_mov_b64_e32 v[78:79], v[116:117]
	scratch_store_dwordx2 off, v[78:79], off offset:1992 ; 8-byte Folded Spill
	s_waitcnt vmcnt(11)
	v_fmac_f64_e32 v[4:5], v[10:11], v[90:91]
	s_waitcnt vmcnt(10)
	v_fmac_f64_e32 v[4:5], v[12:13], v[64:65]
	;; [unrolled: 2-line block ×4, first 2 shown]
	scratch_load_dwordx2 v[18:19], off, off offset:688 ; 8-byte Folded Reload
	s_waitcnt vmcnt(6)
	v_fmac_f64_e32 v[4:5], v[30:31], v[112:113]
	s_waitcnt vmcnt(5)
	v_fmac_f64_e32 v[4:5], v[42:43], v[106:107]
	;; [unrolled: 2-line block ×3, first 2 shown]
	scratch_store_dwordx2 off, v[4:5], off offset:1464 ; 8-byte Folded Spill
	v_fma_f64 v[4:5], v[2:3], v[116:117], 0
	scratch_load_dwordx2 v[116:117], off, off offset:656 ; 8-byte Folded Reload
	scratch_load_dwordx2 v[40:41], off, off offset:912 ; 8-byte Folded Reload
	v_fmac_f64_e32 v[4:5], v[10:11], v[84:85]
	v_mov_b64_e32 v[106:107], v[118:119]
	v_fmac_f64_e32 v[4:5], v[12:13], v[106:107]
	s_waitcnt vmcnt(1)
	v_fmac_f64_e32 v[4:5], v[16:17], v[116:117]
	v_fmac_f64_e32 v[4:5], v[14:15], v[24:25]
	;; [unrolled: 1-line block ×3, first 2 shown]
	scratch_load_dwordx2 v[68:69], off, off offset:984 ; 8-byte Folded Reload
	v_fmac_f64_e32 v[4:5], v[42:43], v[18:19]
	v_fmac_f64_e32 v[4:5], v[46:47], v[32:33]
	scratch_store_dwordx2 off, v[4:5], off offset:1472 ; 8-byte Folded Spill
	v_fma_f64 v[4:5], v[2:3], v[108:109], 0
	v_fmac_f64_e32 v[4:5], v[10:11], v[76:77]
	s_waitcnt vmcnt(2)
	v_fmac_f64_e32 v[4:5], v[12:13], v[40:41]
	v_mov_b64_e32 v[76:77], v[60:61]
	v_fmac_f64_e32 v[4:5], v[16:17], v[76:77]
	v_fmac_f64_e32 v[4:5], v[14:15], v[80:81]
	;; [unrolled: 1-line block ×3, first 2 shown]
	v_mov_b64_e32 v[6:7], v[70:71]
	s_waitcnt vmcnt(1)
	v_fmac_f64_e32 v[4:5], v[42:43], v[68:69]
	v_fmac_f64_e32 v[4:5], v[46:47], v[28:29]
	v_mov_b64_e32 v[28:29], v[38:39]
	scratch_load_dwordx2 v[38:39], off, off offset:608 ; 8-byte Folded Reload
	s_nop 0
	scratch_store_dwordx2 off, v[4:5], off offset:1480 ; 8-byte Folded Spill
	v_fma_f64 v[4:5], v[2:3], v[92:93], 0
	v_fmac_f64_e32 v[4:5], v[10:11], v[28:29]
	s_waitcnt vmcnt(1)
	v_fmac_f64_e32 v[4:5], v[12:13], v[38:39]
	v_fmac_f64_e32 v[4:5], v[16:17], v[66:67]
	v_fmac_f64_e32 v[4:5], v[14:15], v[50:51]
	v_fmac_f64_e32 v[4:5], v[30:31], v[8:9]
	v_fmac_f64_e32 v[4:5], v[42:43], v[6:7]
	v_fmac_f64_e32 v[4:5], v[46:47], v[124:125]
	scratch_store_dwordx2 off, v[4:5], off offset:1816 ; 8-byte Folded Spill
	scratch_store_dwordx2 off, v[124:125], off offset:1192 ; 8-byte Folded Spill
	scratch_load_dwordx2 v[70:71], off, off offset:592 ; 8-byte Folded Reload
	scratch_load_dwordx2 v[114:115], off, off offset:560 ; 8-byte Folded Reload
	scratch_load_dwordx2 v[60:61], off, off offset:576 ; 8-byte Folded Reload
	scratch_load_dwordx2 v[98:99], off, off offset:624 ; 8-byte Folded Reload
	scratch_load_dwordx2 v[34:35], off, off offset:1072 ; 8-byte Folded Reload
	scratch_load_dwordx2 v[32:33], off, off offset:1048 ; 8-byte Folded Reload
	scratch_load_dwordx2 v[44:45], off, off offset:1016 ; 8-byte Folded Reload
	v_fma_f64 v[4:5], v[2:3], v[82:83], 0
	v_fmac_f64_e32 v[4:5], v[10:11], v[102:103]
	v_fmac_f64_e32 v[4:5], v[12:13], v[26:27]
	;; [unrolled: 1-line block ×3, first 2 shown]
	scratch_load_dwordx2 v[118:119], off, off offset:1216 ; 8-byte Folded Reload
	v_fma_f64 v[26:27], v[2:3], v[122:123], 0
	v_fmac_f64_e32 v[26:27], v[10:11], v[22:23]
	v_fma_f64 v[66:67], v[2:3], v[62:63], 0
	v_fma_f64 v[2:3], v[2:3], v[48:49], 0
	v_mov_b64_e32 v[122:123], v[56:57]
	scratch_load_dwordx2 v[22:23], off, off offset:1224 ; 8-byte Folded Reload
	s_waitcnt vmcnt(8)
	v_fmac_f64_e32 v[4:5], v[14:15], v[70:71]
	v_fmac_f64_e32 v[4:5], v[30:31], v[86:87]
	s_waitcnt vmcnt(5)
	v_fmac_f64_e32 v[4:5], v[42:43], v[98:99]
	v_fmac_f64_e32 v[4:5], v[46:47], v[120:121]
	scratch_store_dwordx2 off, v[4:5], off offset:1824 ; 8-byte Folded Spill
	scratch_load_dwordx2 v[4:5], off, off offset:1152 ; 8-byte Folded Reload
	s_waitcnt vmcnt(6)
	v_fmac_f64_e32 v[66:67], v[10:11], v[34:35]
	s_waitcnt vmcnt(5)
	v_fmac_f64_e32 v[66:67], v[12:13], v[32:33]
	s_waitcnt vmcnt(3)
	v_fmac_f64_e32 v[2:3], v[10:11], v[118:119]
	scratch_load_dwordx2 v[10:11], off, off offset:496 ; 8-byte Folded Reload
	v_fmac_f64_e32 v[2:3], v[12:13], v[110:111]
	v_fmac_f64_e32 v[2:3], v[16:17], v[72:73]
	;; [unrolled: 1-line block ×4, first 2 shown]
	s_waitcnt vmcnt(1)
	v_fmac_f64_e32 v[26:27], v[12:13], v[4:5]
	v_fmac_f64_e32 v[26:27], v[16:17], v[96:97]
	;; [unrolled: 1-line block ×6, first 2 shown]
	scratch_store_dwordx2 off, v[26:27], off offset:1840 ; 8-byte Folded Spill
	scratch_load_dwordx2 v[26:27], off, off offset:1200 ; 8-byte Folded Reload
	s_nop 0
	scratch_load_dwordx2 v[12:13], off, off offset:1008 ; 8-byte Folded Reload
	s_waitcnt vmcnt(1)
	v_fmac_f64_e32 v[66:67], v[16:17], v[26:27]
	v_fmac_f64_e32 v[66:67], v[14:15], v[22:23]
	;; [unrolled: 1-line block ×4, first 2 shown]
	s_waitcnt vmcnt(0)
	v_fmac_f64_e32 v[2:3], v[42:43], v[12:13]
	v_fmac_f64_e32 v[66:67], v[46:47], v[126:127]
	;; [unrolled: 1-line block ×3, first 2 shown]
	scratch_store_dwordx2 off, v[66:67], off offset:1832 ; 8-byte Folded Spill
	scratch_store_dwordx2 off, v[2:3], off offset:1320 ; 8-byte Folded Spill
	scratch_load_dwordx2 v[2:3], off, off offset:1344 ; 8-byte Folded Reload
	s_nop 0
	scratch_load_dwordx2 v[102:103], off, off offset:1424 ; 8-byte Folded Reload
	scratch_load_dwordx2 v[30:31], off, off offset:1680 ; 8-byte Folded Reload
	;; [unrolled: 1-line block ×5, first 2 shown]
	v_mov_b64_e32 v[14:15], v[54:55]
	scratch_load_dwordx2 v[54:55], off, off offset:1712 ; 8-byte Folded Reload
	scratch_load_dwordx2 v[56:57], off, off offset:1720 ; 8-byte Folded Reload
	;; [unrolled: 1-line block ×5, first 2 shown]
	s_waitcnt vmcnt(9)
	v_fma_f64 v[0:1], v[2:3], v[102:103], 0
	s_waitcnt vmcnt(8)
	v_fmac_f64_e32 v[0:1], v[30:31], v[90:91]
	s_waitcnt vmcnt(7)
	v_fmac_f64_e32 v[0:1], v[42:43], v[64:65]
	s_waitcnt vmcnt(5)
	v_fmac_f64_e32 v[0:1], v[46:47], v[16:17]
	v_fma_f64 v[64:65], v[2:3], v[78:79], 0
	s_waitcnt vmcnt(4)
	v_fmac_f64_e32 v[0:1], v[54:55], v[104:105]
	s_waitcnt vmcnt(3)
	v_fmac_f64_e32 v[0:1], v[56:57], v[112:113]
	;; [unrolled: 2-line block ×4, first 2 shown]
	v_mov_b64_e32 v[104:105], v[0:1]
	scratch_load_dwordx2 v[0:1], off, off offset:512 ; 8-byte Folded Reload
	scratch_load_dwordx2 v[16:17], off, off offset:960 ; 8-byte Folded Reload
	v_fmac_f64_e32 v[64:65], v[30:31], v[84:85]
	v_fmac_f64_e32 v[64:65], v[42:43], v[106:107]
	;; [unrolled: 1-line block ×4, first 2 shown]
	v_mov_b64_e32 v[112:113], v[106:107]
	v_fma_f64 v[106:107], v[2:3], v[108:109], 0
	scratch_load_dwordx2 v[116:117], off, off offset:1032 ; 8-byte Folded Reload
	v_mov_b64_e32 v[58:59], v[24:25]
	v_fma_f64 v[24:25], v[2:3], v[74:75], 0
	v_mov_b64_e32 v[84:85], v[76:77]
	s_waitcnt vmcnt(2)
	v_fmac_f64_e32 v[64:65], v[56:57], v[0:1]
	v_fmac_f64_e32 v[64:65], v[62:63], v[18:19]
	scratch_load_dwordx2 v[18:19], off, off offset:1176 ; 8-byte Folded Reload
	scratch_load_dwordx2 v[0:1], off, off offset:864 ; 8-byte Folded Reload
	s_waitcnt vmcnt(1)
	v_fmac_f64_e32 v[106:107], v[30:31], v[18:19]
	v_fmac_f64_e32 v[106:107], v[42:43], v[40:41]
	v_fmac_f64_e32 v[106:107], v[46:47], v[76:77]
	v_fmac_f64_e32 v[106:107], v[54:55], v[80:81]
	v_fmac_f64_e32 v[106:107], v[56:57], v[16:17]
	v_fmac_f64_e32 v[106:107], v[62:63], v[68:69]
	v_fmac_f64_e32 v[106:107], v[66:67], v[52:53]
	v_fma_f64 v[52:53], v[2:3], v[92:93], 0
	v_fmac_f64_e32 v[52:53], v[30:31], v[28:29]
	v_fmac_f64_e32 v[52:53], v[42:43], v[38:39]
	s_waitcnt vmcnt(0)
	v_fmac_f64_e32 v[52:53], v[46:47], v[0:1]
	v_fmac_f64_e32 v[52:53], v[54:55], v[50:51]
	;; [unrolled: 1-line block ×4, first 2 shown]
	scratch_load_dwordx2 v[6:7], off, off offset:800 ; 8-byte Folded Reload
	v_mov_b64_e32 v[80:81], v[28:29]
	v_fma_f64 v[28:29], v[2:3], v[82:83], 0
	v_mov_b64_e32 v[40:41], v[38:39]
	v_mov_b64_e32 v[8:9], v[36:37]
	;; [unrolled: 1-line block ×3, first 2 shown]
	v_fmac_f64_e32 v[52:53], v[66:67], v[124:125]
	v_mov_b64_e32 v[124:125], v[4:5]
	v_mov_b64_e32 v[76:77], v[50:51]
	;; [unrolled: 1-line block ×3, first 2 shown]
	s_waitcnt vmcnt(0)
	v_fmac_f64_e32 v[28:29], v[30:31], v[6:7]
	v_fmac_f64_e32 v[28:29], v[42:43], v[94:95]
	;; [unrolled: 1-line block ×6, first 2 shown]
	v_mov_b64_e32 v[36:37], v[98:99]
	scratch_load_dwordx2 v[86:87], off, off offset:1240 ; 8-byte Folded Reload
	scratch_load_dwordx2 v[98:99], off, off offset:528 ; 8-byte Folded Reload
	scratch_load_dwordx2 v[70:71], off, off offset:1336 ; 8-byte Folded Reload
	v_mov_b64_e32 v[94:95], v[34:35]
	v_fmac_f64_e32 v[64:65], v[66:67], v[116:117]
	v_fmac_f64_e32 v[28:29], v[66:67], v[120:121]
	s_waitcnt vmcnt(1)
	v_fmac_f64_e32 v[24:25], v[30:31], v[98:99]
	v_fmac_f64_e32 v[24:25], v[42:43], v[4:5]
	scratch_load_dwordx2 v[4:5], off, off offset:1232 ; 8-byte Folded Reload
	v_fmac_f64_e32 v[24:25], v[46:47], v[96:97]
	v_fmac_f64_e32 v[24:25], v[54:55], v[20:21]
	;; [unrolled: 1-line block ×5, first 2 shown]
	scratch_load_dwordx2 v[122:123], off, off offset:1672 ; 8-byte Folded Reload
	v_fma_f64 v[20:21], v[2:3], v[86:87], 0
	v_fmac_f64_e32 v[20:21], v[30:31], v[34:35]
	v_mov_b64_e32 v[60:61], v[10:11]
	v_mov_b64_e32 v[10:11], v[14:15]
	v_fmac_f64_e32 v[20:21], v[42:43], v[32:33]
	v_fmac_f64_e32 v[20:21], v[46:47], v[26:27]
	;; [unrolled: 1-line block ×6, first 2 shown]
	s_waitcnt vmcnt(1)
	v_fma_f64 v[34:35], v[2:3], v[4:5], 0
	v_fmac_f64_e32 v[34:35], v[30:31], v[118:119]
	v_fmac_f64_e32 v[34:35], v[42:43], v[110:111]
	;; [unrolled: 1-line block ×4, first 2 shown]
	v_fma_f64 v[14:15], v[70:71], v[102:103], 0
	s_waitcnt vmcnt(0)
	v_fmac_f64_e32 v[14:15], v[122:123], v[90:91]
	scratch_load_dwordx2 v[90:91], off, off offset:1664 ; 8-byte Folded Reload
	scratch_load_dwordx2 v[2:3], off, off offset:1024 ; 8-byte Folded Reload
	v_fmac_f64_e32 v[34:35], v[56:57], v[88:89]
	v_mov_b64_e32 v[56:57], v[12:13]
	v_fmac_f64_e32 v[34:35], v[62:63], v[56:57]
	v_fma_f64 v[62:63], v[70:71], v[92:93], 0
	v_fmac_f64_e32 v[62:63], v[122:123], v[80:81]
	v_fmac_f64_e32 v[34:35], v[66:67], v[60:61]
	v_fma_f64 v[66:67], v[70:71], v[108:109], 0
	v_fmac_f64_e32 v[66:67], v[122:123], v[18:19]
	v_fma_f64 v[60:61], v[70:71], v[74:75], 0
	v_fmac_f64_e32 v[60:61], v[122:123], v[98:99]
	s_waitcnt vmcnt(1)
	v_fmac_f64_e32 v[62:63], v[90:91], v[40:41]
	s_waitcnt vmcnt(0)
	v_fmac_f64_e32 v[14:15], v[90:91], v[2:3]
	scratch_load_dwordx2 v[78:79], off, off offset:1656 ; 8-byte Folded Reload
	scratch_load_dwordx2 v[2:3], off, off offset:704 ; 8-byte Folded Reload
	v_fmac_f64_e32 v[60:61], v[90:91], v[124:125]
	s_waitcnt vmcnt(1)
	v_fmac_f64_e32 v[62:63], v[78:79], v[0:1]
	s_waitcnt vmcnt(0)
	v_fmac_f64_e32 v[14:15], v[78:79], v[2:3]
	scratch_load_dwordx2 v[46:47], off, off offset:1648 ; 8-byte Folded Reload
	scratch_load_dwordx2 v[2:3], off, off offset:1040 ; 8-byte Folded Reload
	;; [unrolled: 7-line block ×3, first 2 shown]
	s_waitcnt vmcnt(0)
	v_fmac_f64_e32 v[14:15], v[42:43], v[2:3]
	scratch_load_dwordx2 v[2:3], off, off offset:1632 ; 8-byte Folded Reload
	scratch_load_dwordx2 v[12:13], off, off offset:1056 ; 8-byte Folded Reload
	;; [unrolled: 1-line block ×5, first 2 shown]
	s_waitcnt vmcnt(3)
	v_fmac_f64_e32 v[14:15], v[2:3], v[12:13]
	scratch_load_dwordx2 v[12:13], off, off offset:1992 ; 8-byte Folded Reload
	scratch_load_dwordx2 v[0:1], off, off offset:896 ; 8-byte Folded Reload
	s_waitcnt vmcnt(4)
	v_fmac_f64_e32 v[14:15], v[54:55], v[48:49]
	s_waitcnt vmcnt(1)
	v_fma_f64 v[12:13], v[70:71], v[12:13], 0
	v_fmac_f64_e32 v[12:13], v[122:123], v[30:31]
	scratch_load_dwordx2 v[30:31], off, off offset:656 ; 8-byte Folded Reload
	s_waitcnt vmcnt(1)
	v_fmac_f64_e32 v[62:63], v[42:43], v[0:1]
	scratch_load_dwordx2 v[0:1], off, off offset:928 ; 8-byte Folded Reload
	v_fmac_f64_e32 v[12:13], v[90:91], v[112:113]
	s_waitcnt vmcnt(1)
	v_fmac_f64_e32 v[12:13], v[78:79], v[30:31]
	scratch_load_dwordx2 v[30:31], off, off offset:512 ; 8-byte Folded Reload
	s_waitcnt vmcnt(1)
	v_fmac_f64_e32 v[62:63], v[2:3], v[0:1]
	scratch_load_dwordx2 v[0:1], off, off offset:1192 ; 8-byte Folded Reload
	v_fmac_f64_e32 v[12:13], v[46:47], v[58:59]
	s_waitcnt vmcnt(0)
	v_fmac_f64_e32 v[62:63], v[54:55], v[0:1]
	scratch_load_dwordx2 v[0:1], off, off offset:816 ; 8-byte Folded Reload
	v_fmac_f64_e32 v[12:13], v[42:43], v[30:31]
	scratch_load_dwordx2 v[30:31], off, off offset:688 ; 8-byte Folded Reload
	s_waitcnt vmcnt(0)
	v_fmac_f64_e32 v[12:13], v[2:3], v[30:31]
	v_fma_f64 v[30:31], v[70:71], v[82:83], 0
	v_fmac_f64_e32 v[30:31], v[122:123], v[6:7]
	v_fmac_f64_e32 v[30:31], v[90:91], v[0:1]
	scratch_load_dwordx2 v[0:1], off, off offset:592 ; 8-byte Folded Reload
	v_fmac_f64_e32 v[30:31], v[78:79], v[8:9]
	v_mov_b64_e32 v[6:7], v[56:57]
	v_fma_f64 v[56:57], v[70:71], v[86:87], 0
	v_fma_f64 v[70:71], v[70:71], v[4:5], 0
	v_fmac_f64_e32 v[56:57], v[122:123], v[94:95]
	v_fmac_f64_e32 v[70:71], v[122:123], v[118:119]
	v_fmac_f64_e32 v[56:57], v[90:91], v[32:33]
	v_fmac_f64_e32 v[70:71], v[90:91], v[110:111]
	v_fmac_f64_e32 v[56:57], v[78:79], v[26:27]
	v_fmac_f64_e32 v[70:71], v[78:79], v[72:73]
	v_fmac_f64_e32 v[56:57], v[46:47], v[22:23]
	v_fmac_f64_e32 v[70:71], v[46:47], v[10:11]
	v_fmac_f64_e32 v[56:57], v[42:43], v[100:101]
	v_fmac_f64_e32 v[70:71], v[42:43], v[88:89]
	v_fmac_f64_e32 v[56:57], v[2:3], v[44:45]
	v_fmac_f64_e32 v[70:71], v[2:3], v[6:7]
	v_fmac_f64_e32 v[56:57], v[54:55], v[126:127]
	v_fmac_f64_e32 v[12:13], v[54:55], v[116:117]
	s_waitcnt vmcnt(0)
	v_fmac_f64_e32 v[30:31], v[46:47], v[0:1]
	scratch_load_dwordx2 v[0:1], off, off offset:544 ; 8-byte Folded Reload
	v_fmac_f64_e32 v[66:67], v[90:91], v[18:19]
	scratch_load_dwordx2 v[18:19], off, off offset:944 ; 8-byte Folded Reload
	v_fmac_f64_e32 v[66:67], v[78:79], v[84:85]
	v_fmac_f64_e32 v[30:31], v[42:43], v[38:39]
	v_fmac_f64_e32 v[30:31], v[2:3], v[36:37]
	v_fmac_f64_e32 v[30:31], v[54:55], v[120:121]
	s_waitcnt vmcnt(1)
	v_fmac_f64_e32 v[60:61], v[46:47], v[0:1]
	scratch_load_dwordx2 v[0:1], off, off offset:576 ; 8-byte Folded Reload
	s_waitcnt vmcnt(1)
	v_fmac_f64_e32 v[66:67], v[46:47], v[18:19]
	v_fmac_f64_e32 v[66:67], v[42:43], v[16:17]
	;; [unrolled: 1-line block ×4, first 2 shown]
	scratch_load_dwordx2 v[16:17], off, off offset:672 ; 8-byte Folded Reload
	s_waitcnt vmcnt(1)
	v_fmac_f64_e32 v[60:61], v[2:3], v[0:1]
	scratch_load_dwordx2 v[2:3], off, off offset:496 ; 8-byte Folded Reload
	v_fmac_f64_e32 v[60:61], v[54:55], v[50:51]
	s_waitcnt vmcnt(1)
	v_fmac_f64_e32 v[66:67], v[54:55], v[16:17]
	s_waitcnt vmcnt(0)
	v_fmac_f64_e32 v[70:71], v[54:55], v[2:3]
	scratch_load_dwordx4 v[40:43], off, off offset:2064 ; 16-byte Folded Reload
	scratch_load_dwordx2 v[2:3], off, off offset:1744 ; 8-byte Folded Reload
	s_waitcnt vmcnt(0)
	v_add_f64 v[90:91], v[40:41], v[2:3]
	scratch_load_dwordx2 v[2:3], off, off offset:1864 ; 8-byte Folded Reload
	s_waitcnt vmcnt(0)
	v_add_f64 v[92:93], v[42:43], v[2:3]
	scratch_load_dwordx4 v[40:43], off, off offset:2048 ; 16-byte Folded Reload
	scratch_load_dwordx2 v[2:3], off, off offset:1528 ; 8-byte Folded Reload
	s_waitcnt vmcnt(0)
	v_add_f64 v[108:109], v[40:41], v[2:3]
	scratch_load_dwordx2 v[2:3], off, off offset:1376 ; 8-byte Folded Reload
	s_waitcnt vmcnt(0)
	v_add_f64 v[110:111], v[42:43], v[2:3]
	;; [unrolled: 7-line block ×3, first 2 shown]
	scratch_load_dwordx4 v[40:43], off, off offset:2016 ; 16-byte Folded Reload
	s_waitcnt vmcnt(0)
	v_add_f64 v[78:79], v[40:41], v[104:105]
	v_add_f64 v[80:81], v[42:43], v[14:15]
	scratch_load_dwordx4 v[40:43], off, off offset:2128 ; 16-byte Folded Reload
	scratch_load_dwordx2 v[2:3], off, off offset:1752 ; 8-byte Folded Reload
	s_waitcnt vmcnt(0)
	v_add_f64 v[40:41], v[40:41], v[2:3]
	scratch_load_dwordx2 v[2:3], off, off offset:1872 ; 8-byte Folded Reload
	s_waitcnt vmcnt(0)
	v_add_f64 v[42:43], v[42:43], v[2:3]
	scratch_store_dwordx4 off, v[40:43], off offset:816 ; 16-byte Folded Spill
	scratch_load_dwordx4 v[40:43], off, off offset:2112 ; 16-byte Folded Reload
	s_nop 0
	scratch_load_dwordx2 v[2:3], off, off offset:1536 ; 8-byte Folded Reload
	s_waitcnt vmcnt(0)
	v_add_f64 v[40:41], v[40:41], v[2:3]
	scratch_load_dwordx2 v[2:3], off, off offset:1512 ; 8-byte Folded Reload
	s_waitcnt vmcnt(0)
	v_add_f64 v[42:43], v[42:43], v[2:3]
	scratch_store_dwordx4 off, v[40:43], off offset:528 ; 16-byte Folded Spill
	scratch_load_dwordx4 v[40:43], off, off offset:2096 ; 16-byte Folded Reload
	s_nop 0
	scratch_load_dwordx2 v[0:1], off, off offset:1488 ; 8-byte Folded Reload
	s_waitcnt vmcnt(0)
	v_add_f64 v[40:41], v[40:41], v[0:1]
	scratch_load_dwordx2 v[0:1], off, off offset:1472 ; 8-byte Folded Reload
	s_waitcnt vmcnt(0)
	v_add_f64 v[42:43], v[42:43], v[0:1]
	scratch_store_dwordx4 off, v[40:43], off offset:752 ; 16-byte Folded Spill
	scratch_load_dwordx4 v[40:43], off, off offset:2080 ; 16-byte Folded Reload
	s_waitcnt vmcnt(0)
	v_add_f64 v[120:121], v[40:41], v[64:65]
	v_add_f64 v[122:123], v[42:43], v[12:13]
	scratch_load_dwordx4 v[40:43], off, off offset:2192 ; 16-byte Folded Reload
	scratch_load_dwordx2 v[2:3], off, off offset:1760 ; 8-byte Folded Reload
	s_waitcnt vmcnt(0)
	v_add_f64 v[40:41], v[40:41], v[2:3]
	scratch_load_dwordx2 v[2:3], off, off offset:1400 ; 8-byte Folded Reload
	s_waitcnt vmcnt(0)
	v_add_f64 v[42:43], v[42:43], v[2:3]
	scratch_store_dwordx4 off, v[40:43], off offset:800 ; 16-byte Folded Spill
	scratch_load_dwordx4 v[40:43], off, off offset:2176 ; 16-byte Folded Reload
	s_nop 0
	scratch_load_dwordx2 v[2:3], off, off offset:1544 ; 8-byte Folded Reload
	scratch_load_dwordx2 v[0:1], off, off offset:1520 ; 8-byte Folded Reload
	s_waitcnt vmcnt(1)
	v_add_f64 v[40:41], v[40:41], v[2:3]
	s_waitcnt vmcnt(0)
	v_add_f64 v[42:43], v[42:43], v[0:1]
	scratch_store_dwordx4 off, v[40:43], off offset:672 ; 16-byte Folded Spill
	scratch_load_dwordx4 v[40:43], off, off offset:2160 ; 16-byte Folded Reload
	s_nop 0
	scratch_load_dwordx2 v[0:1], off, off offset:1496 ; 8-byte Folded Reload
	s_waitcnt vmcnt(0)
	v_add_f64 v[40:41], v[40:41], v[0:1]
	scratch_load_dwordx2 v[0:1], off, off offset:1480 ; 8-byte Folded Reload
	s_waitcnt vmcnt(0)
	v_add_f64 v[42:43], v[42:43], v[0:1]
	scratch_store_dwordx4 off, v[40:43], off offset:656 ; 16-byte Folded Spill
	scratch_load_dwordx4 v[40:43], off, off offset:2144 ; 16-byte Folded Reload
	s_waitcnt vmcnt(0)
	v_add_f64 v[40:41], v[40:41], v[106:107]
	v_add_f64 v[42:43], v[42:43], v[66:67]
	scratch_store_dwordx4 off, v[40:43], off offset:640 ; 16-byte Folded Spill
	scratch_load_dwordx4 v[40:43], off, off offset:2256 ; 16-byte Folded Reload
	s_nop 0
	scratch_load_dwordx2 v[2:3], off, off offset:1768 ; 8-byte Folded Reload
	s_waitcnt vmcnt(0)
	v_add_f64 v[104:105], v[40:41], v[2:3]
	scratch_load_dwordx2 v[2:3], off, off offset:1552 ; 8-byte Folded Reload
	s_waitcnt vmcnt(0)
	v_add_f64 v[106:107], v[42:43], v[2:3]
	scratch_load_dwordx4 v[44:47], off, off offset:2240 ; 16-byte Folded Reload
	scratch_load_dwordx2 v[2:3], off, off offset:1584 ; 8-byte Folded Reload
	scratch_load_dwordx2 v[0:1], off, off offset:1912 ; 8-byte Folded Reload
	s_waitcnt vmcnt(1)
	v_add_f64 v[98:99], v[44:45], v[2:3]
	s_waitcnt vmcnt(0)
	v_add_f64 v[100:101], v[46:47], v[0:1]
	scratch_load_dwordx4 v[44:47], off, off offset:2224 ; 16-byte Folded Reload
	scratch_load_dwordx2 v[0:1], off, off offset:1504 ; 8-byte Folded Reload
	s_waitcnt vmcnt(0)
	v_add_f64 v[36:37], v[44:45], v[0:1]
	scratch_load_dwordx2 v[0:1], off, off offset:1816 ; 8-byte Folded Reload
	s_waitcnt vmcnt(0)
	v_add_f64 v[38:39], v[46:47], v[0:1]
	scratch_store_dwordx4 off, v[36:39], off offset:864 ; 16-byte Folded Spill
	scratch_load_dwordx4 v[36:39], off, off offset:2208 ; 16-byte Folded Reload
	s_waitcnt vmcnt(0)
	v_add_f64 v[36:37], v[36:37], v[52:53]
	v_add_f64 v[38:39], v[38:39], v[62:63]
	scratch_store_dwordx4 off, v[36:39], off offset:592 ; 16-byte Folded Spill
	scratch_load_dwordx4 v[36:39], off, off offset:2320 ; 16-byte Folded Reload
	s_nop 0
	scratch_load_dwordx2 v[2:3], off, off offset:1776 ; 8-byte Folded Reload
	s_waitcnt vmcnt(0)
	v_add_f64 v[36:37], v[36:37], v[2:3]
	scratch_load_dwordx2 v[2:3], off, off offset:1560 ; 8-byte Folded Reload
	s_waitcnt vmcnt(0)
	v_add_f64 v[38:39], v[38:39], v[2:3]
	scratch_store_dwordx4 off, v[36:39], off offset:624 ; 16-byte Folded Spill
	scratch_load_dwordx4 v[36:39], off, off offset:2304 ; 16-byte Folded Reload
	s_nop 0
	scratch_load_dwordx2 v[2:3], off, off offset:1592 ; 8-byte Folded Reload
	scratch_load_dwordx2 v[0:1], off, off offset:1920 ; 8-byte Folded Reload
	s_waitcnt vmcnt(1)
	v_add_f64 v[36:37], v[36:37], v[2:3]
	s_waitcnt vmcnt(0)
	v_add_f64 v[38:39], v[38:39], v[0:1]
	scratch_store_dwordx4 off, v[36:39], off offset:608 ; 16-byte Folded Spill
	scratch_load_dwordx4 v[36:39], off, off offset:2288 ; 16-byte Folded Reload
	s_nop 0
	scratch_load_dwordx2 v[0:1], off, off offset:1880 ; 8-byte Folded Reload
	scratch_load_dwordx4 v[6:9], off, off offset:2272 ; 16-byte Folded Reload
	s_waitcnt vmcnt(1)
	v_add_f64 v[52:53], v[36:37], v[0:1]
	scratch_load_dwordx2 v[0:1], off, off offset:1824 ; 8-byte Folded Reload
	s_waitcnt vmcnt(1)
	v_add_f64 v[6:7], v[6:7], v[28:29]
	v_add_f64 v[8:9], v[8:9], v[30:31]
	scratch_store_dwordx4 off, v[6:9], off offset:944 ; 16-byte Folded Spill
	scratch_load_dwordx4 v[6:9], off, off offset:2384 ; 16-byte Folded Reload
	s_nop 0
	scratch_load_dwordx2 v[2:3], off, off offset:1848 ; 8-byte Folded Reload
	s_waitcnt vmcnt(3)
	v_add_f64 v[54:55], v[38:39], v[0:1]
	s_waitcnt vmcnt(0)
	v_add_f64 v[6:7], v[6:7], v[2:3]
	scratch_load_dwordx2 v[2:3], off, off offset:1568 ; 8-byte Folded Reload
	s_waitcnt vmcnt(0)
	v_add_f64 v[8:9], v[8:9], v[2:3]
	scratch_store_dwordx4 off, v[6:9], off offset:496 ; 16-byte Folded Spill
	scratch_load_dwordx4 v[6:9], off, off offset:2368 ; 16-byte Folded Reload
	s_nop 0
	scratch_load_dwordx2 v[2:3], off, off offset:1688 ; 8-byte Folded Reload
	scratch_load_dwordx2 v[0:1], off, off offset:1928 ; 8-byte Folded Reload
	s_waitcnt vmcnt(1)
	v_add_f64 v[6:7], v[6:7], v[2:3]
	s_waitcnt vmcnt(0)
	v_add_f64 v[8:9], v[8:9], v[0:1]
	scratch_store_dwordx4 off, v[6:9], off offset:576 ; 16-byte Folded Spill
	scratch_load_dwordx4 v[6:9], off, off offset:2352 ; 16-byte Folded Reload
	s_nop 0
	scratch_load_dwordx2 v[0:1], off, off offset:1904 ; 8-byte Folded Reload
	scratch_load_dwordx4 v[30:33], off, off offset:2336 ; 16-byte Folded Reload
	s_waitcnt vmcnt(1)
	v_add_f64 v[6:7], v[6:7], v[0:1]
	scratch_load_dwordx2 v[0:1], off, off offset:1840 ; 8-byte Folded Reload
	s_waitcnt vmcnt(0)
	v_add_f64 v[8:9], v[8:9], v[0:1]
	scratch_store_dwordx4 off, v[6:9], off offset:560 ; 16-byte Folded Spill
	s_nop 1
	v_add_f64 v[6:7], v[30:31], v[24:25]
	v_add_f64 v[8:9], v[32:33], v[60:61]
	scratch_store_dwordx4 off, v[6:9], off offset:544 ; 16-byte Folded Spill
	scratch_load_dwordx4 v[6:9], off, off offset:2448 ; 16-byte Folded Reload
	s_nop 0
	scratch_load_dwordx2 v[2:3], off, off offset:1856 ; 8-byte Folded Reload
	s_waitcnt vmcnt(0)
	v_add_f64 v[94:95], v[6:7], v[2:3]
	scratch_load_dwordx2 v[2:3], off, off offset:1576 ; 8-byte Folded Reload
	s_waitcnt vmcnt(0)
	v_add_f64 v[96:97], v[8:9], v[2:3]
	scratch_load_dwordx4 v[6:9], off, off offset:2432 ; 16-byte Folded Reload
	scratch_load_dwordx2 v[2:3], off, off offset:1696 ; 8-byte Folded Reload
	scratch_load_dwordx2 v[0:1], off, off offset:1936 ; 8-byte Folded Reload
	s_waitcnt vmcnt(1)
	v_add_f64 v[42:43], v[6:7], v[2:3]
	s_waitcnt vmcnt(0)
	v_add_f64 v[44:45], v[8:9], v[0:1]
	scratch_load_dwordx4 v[6:9], off, off offset:2416 ; 16-byte Folded Reload
	scratch_load_dwordx2 v[0:1], off, off offset:1896 ; 8-byte Folded Reload
	s_waitcnt vmcnt(0)
	v_add_f64 v[38:39], v[6:7], v[0:1]
	scratch_load_dwordx2 v[0:1], off, off offset:1832 ; 8-byte Folded Reload
	s_waitcnt vmcnt(0)
	v_add_f64 v[40:41], v[8:9], v[0:1]
	scratch_load_dwordx4 v[6:9], off, off offset:2400 ; 16-byte Folded Reload
	s_waitcnt vmcnt(0)
	v_add_f64 v[6:7], v[6:7], v[20:21]
	v_add_f64 v[8:9], v[8:9], v[56:57]
	scratch_store_dwordx4 off, v[6:9], off offset:832 ; 16-byte Folded Spill
	scratch_load_dwordx4 v[6:9], off, off offset:2512 ; 16-byte Folded Reload
	s_nop 0
	scratch_load_dwordx2 v[2:3], off, off offset:1392 ; 8-byte Folded Reload
	s_waitcnt vmcnt(0)
	v_add_f64 v[26:27], v[6:7], v[2:3]
	scratch_load_dwordx2 v[2:3], off, off offset:1384 ; 8-byte Folded Reload
	s_waitcnt vmcnt(0)
	v_add_f64 v[28:29], v[8:9], v[2:3]
	scratch_load_dwordx4 v[6:9], off, off offset:2496 ; 16-byte Folded Reload
	scratch_load_dwordx2 v[2:3], off, off offset:1328 ; 8-byte Folded Reload
	scratch_load_dwordx2 v[0:1], off, off offset:1368 ; 8-byte Folded Reload
	s_waitcnt vmcnt(1)
	v_add_f64 v[2:3], v[6:7], v[2:3]
	s_waitcnt vmcnt(0)
	v_add_f64 v[4:5], v[8:9], v[0:1]
	scratch_store_dwordx4 off, v[2:5], off offset:784 ; 16-byte Folded Spill
	scratch_load_dwordx4 v[2:5], off, off offset:2480 ; 16-byte Folded Reload
	s_nop 0
	scratch_load_dwordx2 v[0:1], off, off offset:1352 ; 8-byte Folded Reload
	scratch_load_dwordx4 v[86:89], off, off offset:2464 ; 16-byte Folded Reload
	scratch_load_dwordx2 v[22:23], off, off offset:1616 ; 8-byte Folded Reload
	scratch_load_dwordx2 v[24:25], off, off offset:1624 ; 8-byte Folded Reload
	s_waitcnt vmcnt(3)
	v_add_f64 v[0:1], v[2:3], v[0:1]
	scratch_load_dwordx2 v[2:3], off, off offset:1320 ; 8-byte Folded Reload
	s_waitcnt vmcnt(2)
	v_lshl_add_u64 v[22:23], v[22:23], 0, 8
	scratch_store_dwordx4 off, v[124:127], off offset:848 ; 16-byte Folded Spill
	s_waitcnt vmcnt(2)
	v_lshl_add_u64 v[24:25], v[24:25], 0, 8
	s_waitcnt vmcnt(1)
	v_add_f64 v[2:3], v[4:5], v[2:3]
	scratch_store_dwordx4 off, v[0:3], off offset:768 ; 16-byte Folded Spill
	s_nop 1
	v_add_f64 v[0:1], v[86:87], v[34:35]
	v_add_f64 v[2:3], v[88:89], v[70:71]
	scratch_store_dwordx4 off, v[0:3], off offset:512 ; 16-byte Folded Spill
	scratch_load_dwordx2 v[2:3], off, off offset:1608 ; 8-byte Folded Reload
	s_waitcnt vmcnt(0)
	v_lshl_add_u64 v[2:3], v[2:3], 0, 8
	s_cbranch_scc1 .LBB0_35
; %bb.33:                               ;   in Loop: Header=BB0_21 Depth=1
	scratch_load_dwordx4 v[116:119], off, off offset:384 ; 16-byte Folded Reload
	scratch_load_dwordx4 v[82:85], off, off offset:144 ; 16-byte Folded Reload
	;; [unrolled: 1-line block ×9, first 2 shown]
	s_branch .LBB0_21
.LBB0_34:                               ;   in Loop: Header=BB0_21 Depth=1
                                        ; implicit-def: $vgpr2_vgpr3
	s_waitcnt vmcnt(13)
	v_mov_b64_e32 v[62:63], v[70:71]
	v_mov_b64_e32 v[64:65], v[72:73]
	s_branch .LBB0_23
.LBB0_35:
	scratch_store_dwordx4 off, v[78:81], off offset:960 ; 16-byte Folded Spill
	scratch_store_dwordx4 off, v[94:97], off offset:896 ; 16-byte Folded Spill
	;; [unrolled: 1-line block ×5, first 2 shown]
	scratch_load_dwordx4 v[116:119], off, off offset:384 ; 16-byte Folded Reload
	s_nop 0
	scratch_load_dwordx4 v[94:97], off, off offset:144 ; 16-byte Folded Reload
	scratch_load_dwordx4 v[62:65], off, off offset:208 ; 16-byte Folded Reload
	;; [unrolled: 1-line block ×11, first 2 shown]
	scratch_load_dwordx2 v[2:3], off, off offset:2584 ; 8-byte Folded Reload
	scratch_load_dwordx4 v[22:25], off, off offset:32 ; 16-byte Folded Reload
	scratch_load_dwordx4 v[78:81], off, off offset:944 ; 16-byte Folded Reload
	s_nop 0
	scratch_store_dwordx4 off, v[120:123], off offset:688 ; 16-byte Folded Spill
.LBB0_36:
	scratch_load_dwordx4 v[56:59], off, off offset:752 ; 16-byte Folded Reload
	scratch_load_dwordx4 v[46:49], off, off offset:528 ; 16-byte Folded Reload
	s_load_dwordx2 s[2:3], s[0:1], 0x70
	s_waitcnt vmcnt(1)
	scratch_store_dwordx4 off, v[56:59], off offset:752 ; 16-byte Folded Spill
; %bb.37:
	v_mov_b64_e32 v[40:41], v[24:25]
	v_mov_b64_e32 v[38:39], v[22:23]
	scratch_load_dwordx2 v[4:5], off, off offset:2528 ; 8-byte Folded Reload
	scratch_load_dwordx4 v[22:25], off, off offset:688 ; 16-byte Folded Reload
	v_lshl_add_u64 v[0:1], v[2:3], 3, s[8:9]
	s_cmp_lt_i32 s13, 1
	s_waitcnt vmcnt(1)
	global_store_dwordx2 v[0:1], v[4:5], off
	s_cbranch_scc1 .LBB0_49
; %bb.38:
	s_load_dword s4, s[0:1], 0x78
	s_nop 0
	s_load_dwordx2 s[0:1], s[0:1], 0x80
	v_mul_lo_u32 v0, v2, s13
	v_ashrrev_i32_e32 v1, 31, v0
	s_cmp_lg_u32 s13, 0
	v_lshlrev_b64 v[0:1], 3, v[0:1]
	s_cselect_b64 vcc, -1, 0
	s_waitcnt lgkmcnt(0)
	s_bitcmp1_b32 s4, 0
	v_lshl_add_u64 v[2:3], s[2:3], 0, v[0:1]
	s_cselect_b64 s[2:3], -1, 0
	s_cmp_lg_u32 s12, 0
	v_lshl_add_u64 v[0:1], s[0:1], 0, v[0:1]
	s_cselect_b64 s[0:1], -1, 0
	scratch_store_dwordx2 off, v[0:1], off offset:944 ; 8-byte Folded Spill
	v_cndmask_b32_e64 v0, 0, 1, s[0:1]
	v_cndmask_b32_e32 v103, 0, v3, vcc
	v_cndmask_b32_e32 v102, 0, v2, vcc
	v_cmp_ne_u32_e64 s[0:1], 1, v0
	s_lshl_b32 s6, s12, 1
	s_branch .LBB0_41
.LBB0_39:                               ;   in Loop: Header=BB0_41 Depth=1
	v_mov_b64_e32 v[56:57], v[104:105]
	v_mov_b64_e32 v[82:83], v[98:99]
	;; [unrolled: 1-line block ×3, first 2 shown]
	s_waitcnt vmcnt(1)
	scratch_store_dwordx4 off, v[46:49], off offset:528 ; 16-byte Folded Spill
	s_waitcnt vmcnt(4)
	scratch_store_dwordx4 off, v[22:25], off offset:688 ; 16-byte Folded Spill
	v_mov_b64_e32 v[58:59], v[106:107]
	v_mov_b64_e32 v[84:85], v[100:101]
	;; [unrolled: 1-line block ×3, first 2 shown]
.LBB0_40:                               ;   in Loop: Header=BB0_41 Depth=1
	scratch_load_dwordx4 v[0:3], off, off offset:400 ; 16-byte Folded Reload
	s_waitcnt vmcnt(2)
	v_mov_b64_e32 v[52:53], v[20:21]
	v_mov_b64_e32 v[50:51], v[18:19]
	;; [unrolled: 1-line block ×8, first 2 shown]
	scratch_load_dwordx4 v[4:7], off, off offset:176 ; 16-byte Folded Reload
	scratch_load_dwordx4 v[12:15], off, off offset:192 ; 16-byte Folded Reload
	;; [unrolled: 1-line block ×10, first 2 shown]
	s_add_i32 s13, s13, -1
	scratch_store_dwordx4 off, v[72:75], off offset:592 ; 16-byte Folded Spill
	v_mov_b64_e32 v[106:107], v[58:59]
	s_waitcnt vmcnt(12)
	v_lshl_add_u64 v[102:103], v[102:103], 0, 8
	s_cmp_lg_u32 s13, 0
	v_mov_b64_e32 v[104:105], v[56:57]
	scratch_load_dwordx4 v[116:119], off, off offset:384 ; 16-byte Folded Reload
	scratch_load_dwordx4 v[94:97], off, off offset:144 ; 16-byte Folded Reload
	;; [unrolled: 1-line block ×4, first 2 shown]
	s_waitcnt vmcnt(15)
	v_fma_f64 v[16:17], v[0:1], v[38:39], 0
	s_waitcnt vmcnt(14)
	v_fmac_f64_e32 v[16:17], v[4:5], v[40:41]
	s_waitcnt vmcnt(12)
	v_fmac_f64_e32 v[16:17], v[8:9], v[42:43]
	v_fmac_f64_e32 v[16:17], v[12:13], v[44:45]
	s_waitcnt vmcnt(11)
	v_fmac_f64_e32 v[16:17], v[22:23], v[46:47]
	s_waitcnt vmcnt(10)
	;; [unrolled: 2-line block ×3, first 2 shown]
	v_fmac_f64_e32 v[16:17], v[18:19], v[50:51]
	v_fma_f64 v[18:19], v[38:39], v[2:3], 0
	scratch_load_dwordx4 v[0:3], off, off offset:272 ; 16-byte Folded Reload
	v_fmac_f64_e32 v[18:19], v[40:41], v[6:7]
	scratch_load_dwordx4 v[4:7], off, off offset:160 ; 16-byte Folded Reload
	v_fmac_f64_e32 v[18:19], v[42:43], v[10:11]
	scratch_load_dwordx4 v[8:11], off, off  ; 16-byte Folded Reload
	v_fmac_f64_e32 v[18:19], v[44:45], v[14:15]
	scratch_load_dwordx4 v[12:15], off, off offset:480 ; 16-byte Folded Reload
	v_fmac_f64_e32 v[18:19], v[46:47], v[24:25]
	v_fmac_f64_e32 v[18:19], v[48:49], v[28:29]
	scratch_load_dwordx4 v[26:29], off, off offset:112 ; 16-byte Folded Reload
	v_fmac_f64_e32 v[18:19], v[50:51], v[20:21]
	s_waitcnt vmcnt(4)
	v_fma_f64 v[20:21], v[38:39], v[0:1], 0
	v_fma_f64 v[22:23], v[38:39], v[2:3], 0
	s_waitcnt vmcnt(3)
	v_fmac_f64_e32 v[20:21], v[40:41], v[4:5]
	v_fmac_f64_e32 v[22:23], v[40:41], v[6:7]
	s_waitcnt vmcnt(2)
	v_fmac_f64_e32 v[20:21], v[42:43], v[8:9]
	v_fmac_f64_e32 v[20:21], v[44:45], v[94:95]
	;; [unrolled: 1-line block ×4, first 2 shown]
	scratch_load_dwordx4 v[4:7], off, off offset:464 ; 16-byte Folded Reload
	s_waitcnt vmcnt(2)
	v_fmac_f64_e32 v[20:21], v[46:47], v[12:13]
	v_fmac_f64_e32 v[22:23], v[46:47], v[14:15]
	scratch_load_dwordx4 v[0:3], off, off offset:368 ; 16-byte Folded Reload
	v_fmac_f64_e32 v[20:21], v[48:49], v[30:31]
	v_fmac_f64_e32 v[22:23], v[48:49], v[32:33]
	scratch_load_dwordx4 v[30:33], off, off offset:96 ; 16-byte Folded Reload
	s_waitcnt vmcnt(3)
	v_fmac_f64_e32 v[20:21], v[50:51], v[26:27]
	scratch_load_dwordx4 v[24:27], off, off offset:288 ; 16-byte Folded Reload
	scratch_load_dwordx4 v[8:11], off, off offset:336 ; 16-byte Folded Reload
	v_fmac_f64_e32 v[22:23], v[50:51], v[28:29]
	scratch_load_dwordx4 v[12:15], off, off offset:16 ; 16-byte Folded Reload
	s_waitcnt vmcnt(2)
	v_fmac_f64_e32 v[22:23], v[52:53], v[26:27]
	scratch_load_dwordx4 v[26:29], off, off offset:240 ; 16-byte Folded Reload
	v_fmac_f64_e32 v[20:21], v[52:53], v[24:25]
	v_fma_f64 v[24:25], v[38:39], v[0:1], 0
	v_fmac_f64_e32 v[24:25], v[40:41], v[4:5]
	s_waitcnt vmcnt(2)
	v_fmac_f64_e32 v[24:25], v[42:43], v[8:9]
	v_fmac_f64_e32 v[24:25], v[44:45], v[116:117]
	;; [unrolled: 1-line block ×3, first 2 shown]
	s_waitcnt vmcnt(1)
	v_fmac_f64_e32 v[24:25], v[48:49], v[12:13]
	v_fmac_f64_e32 v[16:17], v[112:113], v[52:53]
	;; [unrolled: 1-line block ×3, first 2 shown]
	s_waitcnt vmcnt(0)
	v_fmac_f64_e32 v[24:25], v[50:51], v[26:27]
	v_fma_f64 v[26:27], v[38:39], v[2:3], 0
	v_fmac_f64_e32 v[26:27], v[40:41], v[6:7]
	v_fmac_f64_e32 v[26:27], v[42:43], v[10:11]
	v_fmac_f64_e32 v[26:27], v[44:45], v[118:119]
	v_fmac_f64_e32 v[26:27], v[46:47], v[64:65]
	scratch_load_dwordx4 v[0:3], off, off offset:736 ; 16-byte Folded Reload
	v_fmac_f64_e32 v[26:27], v[48:49], v[14:15]
	scratch_load_dwordx4 v[12:15], off, off offset:320 ; 16-byte Folded Reload
	scratch_load_dwordx4 v[8:11], off, off offset:352 ; 16-byte Folded Reload
	v_fmac_f64_e32 v[26:27], v[50:51], v[28:29]
	v_fmac_f64_e32 v[24:25], v[52:53], v[30:31]
	;; [unrolled: 1-line block ×3, first 2 shown]
	scratch_load_dwordx4 v[30:33], off, off offset:64 ; 16-byte Folded Reload
	scratch_load_dwordx4 v[4:7], off, off offset:256 ; 16-byte Folded Reload
	s_waitcnt vmcnt(4)
	v_fma_f64 v[28:29], v[38:39], v[0:1], 0
	s_waitcnt vmcnt(3)
	v_fmac_f64_e32 v[28:29], v[40:41], v[12:13]
	v_fmac_f64_e32 v[28:29], v[42:43], v[70:71]
	s_waitcnt vmcnt(1)
	v_fmac_f64_e32 v[28:29], v[44:45], v[30:31]
	v_fma_f64 v[30:31], v[38:39], v[2:3], 0
	v_fmac_f64_e32 v[30:31], v[40:41], v[14:15]
	v_fmac_f64_e32 v[30:31], v[42:43], v[72:73]
	;; [unrolled: 1-line block ×7, first 2 shown]
	s_waitcnt vmcnt(0)
	v_fmac_f64_e32 v[28:29], v[50:51], v[4:5]
	v_fmac_f64_e32 v[30:31], v[50:51], v[6:7]
	;; [unrolled: 1-line block ×4, first 2 shown]
	s_set_gpr_idx_on s6, gpr_idx(SRC0)
	v_mov_b32_e32 v1, v17
	v_mov_b32_e32 v0, v16
	s_set_gpr_idx_off
	scratch_load_dwordx2 v[2:3], off, off offset:1600 ; 8-byte Folded Reload
	v_mov_b64_e32 v[38:39], v[70:71]
	v_mov_b64_e32 v[54:55], v[36:37]
	;; [unrolled: 1-line block ×6, first 2 shown]
	s_waitcnt vmcnt(0)
	v_add_f64 v[0:1], v[2:3], v[0:1]
	s_set_gpr_idx_on s6, gpr_idx(DST)
	v_mov_b32_e32 v16, v0
	v_mov_b32_e32 v17, v1
	s_set_gpr_idx_off
	scratch_load_dwordx2 v[0:1], off, off offset:944 ; 8-byte Folded Reload
	v_mov_b64_e32 v[6:7], v[16:17]
	v_mov_b64_e32 v[8:9], v[18:19]
	;; [unrolled: 1-line block ×8, first 2 shown]
	s_waitcnt vmcnt(0)
	v_lshl_add_u64 v[0:1], v[0:1], 0, 8
	scratch_store_dwordx2 off, v[0:1], off offset:944 ; 8-byte Folded Spill
	scratch_load_dwordx4 v[22:25], off, off offset:688 ; 16-byte Folded Reload
	scratch_load_dwordx4 v[46:49], off, off offset:528 ; 16-byte Folded Reload
	s_cbranch_scc0 .LBB0_49
.LBB0_41:                               ; =>This Inner Loop Header: Depth=1
	s_and_b64 vcc, exec, s[0:1]
	s_cbranch_vccnz .LBB0_48
; %bb.42:                               ;   in Loop: Header=BB0_41 Depth=1
	scratch_load_dwordx2 v[0:1], off, off offset:1264 ; 8-byte Folded Reload
	scratch_load_dwordx2 v[2:3], off, off offset:1256 ; 8-byte Folded Reload
	s_waitcnt vmcnt(1)
	v_fma_f64 v[0:1], v[6:7], v[0:1], 0
	s_waitcnt vmcnt(0)
	v_fmac_f64_e32 v[0:1], v[8:9], v[2:3]
	scratch_load_dwordx2 v[2:3], off, off offset:1280 ; 8-byte Folded Reload
	s_waitcnt vmcnt(0)
	v_fmac_f64_e32 v[0:1], v[10:11], v[2:3]
	scratch_load_dwordx2 v[2:3], off, off offset:1272 ; 8-byte Folded Reload
	s_waitcnt vmcnt(0)
	v_fmac_f64_e32 v[0:1], v[12:13], v[2:3]
	scratch_load_dwordx2 v[2:3], off, off offset:1296 ; 8-byte Folded Reload
	s_waitcnt vmcnt(0)
	v_fmac_f64_e32 v[0:1], v[14:15], v[2:3]
	scratch_load_dwordx2 v[2:3], off, off offset:1288 ; 8-byte Folded Reload
	s_waitcnt vmcnt(0)
	v_fmac_f64_e32 v[0:1], v[16:17], v[2:3]
	scratch_load_dwordx2 v[2:3], off, off offset:1312 ; 8-byte Folded Reload
	s_waitcnt vmcnt(0)
	v_fmac_f64_e32 v[0:1], v[18:19], v[2:3]
	scratch_load_dwordx2 v[2:3], off, off offset:1304 ; 8-byte Folded Reload
	s_waitcnt vmcnt(0)
	v_fmac_f64_e32 v[0:1], v[20:21], v[2:3]
	global_store_dwordx2 v[102:103], v[0:1], off
	scratch_load_dwordx4 v[72:75], off, off offset:592 ; 16-byte Folded Reload
	s_cbranch_execnz .LBB0_44
.LBB0_43:                               ;   in Loop: Header=BB0_41 Depth=1
	global_store_dwordx2 v[102:103], v[6:7], off
.LBB0_44:                               ;   in Loop: Header=BB0_41 Depth=1
	s_andn2_b64 vcc, exec, s[2:3]
	s_cbranch_vccnz .LBB0_39
; %bb.45:                               ;   in Loop: Header=BB0_41 Depth=1
	scratch_store_dwordx2 off, v[102:103], off offset:592 ; 8-byte Folded Spill
	scratch_store_dwordx4 off, v[6:9], off offset:1080 ; 16-byte Folded Spill
	s_nop 0
	scratch_store_dwordx4 off, v[10:13], off offset:1096 ; 16-byte Folded Spill
	scratch_store_dwordx4 off, v[14:17], off offset:1112 ; 16-byte Folded Spill
	;; [unrolled: 1-line block ×3, first 2 shown]
	scratch_load_dwordx4 v[18:21], off, off offset:704 ; 16-byte Folded Reload
	s_nop 0
	scratch_load_dwordx4 v[56:59], off, off offset:720 ; 16-byte Folded Reload
	scratch_load_dwordx4 v[86:89], off, off offset:544 ; 16-byte Folded Reload
	;; [unrolled: 1-line block ×3, first 2 shown]
	v_mov_b64_e32 v[126:127], v[80:81]
	scratch_store_dwordx4 off, v[52:55], off offset:912 ; 16-byte Folded Spill
	v_mov_b64_e32 v[124:125], v[78:79]
	scratch_load_dwordx4 v[50:53], off, off offset:576 ; 16-byte Folded Reload
	scratch_load_dwordx4 v[80:83], off, off offset:496 ; 16-byte Folded Reload
	s_and_b64 vcc, exec, s[0:1]
	scratch_store_dwordx4 off, v[98:101], off offset:928 ; 16-byte Folded Spill
	scratch_load_dwordx4 v[98:101], off, off offset:864 ; 16-byte Folded Reload
	s_nop 0
	scratch_load_dwordx4 v[76:79], off, off offset:960 ; 16-byte Folded Reload
	v_mov_b64_e32 v[32:33], v[90:91]
	s_cbranch_vccnz .LBB0_47
; %bb.46:                               ;   in Loop: Header=BB0_41 Depth=1
	scratch_load_dwordx2 v[4:5], off, off offset:1264 ; 8-byte Folded Reload
	scratch_load_dwordx4 v[64:67], off, off offset:816 ; 16-byte Folded Reload
	scratch_load_dwordx2 v[2:3], off, off offset:1256 ; 8-byte Folded Reload
	scratch_load_dwordx2 v[8:9], off, off offset:1280 ; 8-byte Folded Reload
	;; [unrolled: 1-line block ×7, first 2 shown]
	scratch_load_dwordx4 v[26:29], off, off offset:896 ; 16-byte Folded Reload
	scratch_load_dwordx4 v[116:119], off, off offset:752 ; 16-byte Folded Reload
	s_waitcnt vmcnt(10)
	v_mul_f64 v[0:1], v[90:91], v[4:5]
	v_fma_f64 v[32:33], v[0:1], v[4:5], 0
	s_waitcnt vmcnt(9)
	v_mul_f64 v[0:1], v[64:65], v[4:5]
	scratch_load_dwordx4 v[62:65], off, off offset:800 ; 16-byte Folded Reload
	s_waitcnt vmcnt(9)
	v_fmac_f64_e32 v[32:33], v[0:1], v[2:3]
	s_waitcnt vmcnt(0)
	v_mul_f64 v[0:1], v[62:63], v[4:5]
	scratch_load_dwordx4 v[60:63], off, off offset:624 ; 16-byte Folded Reload
	v_fmac_f64_e32 v[32:33], v[0:1], v[8:9]
	v_mul_f64 v[0:1], v[104:105], v[4:5]
	v_fmac_f64_e32 v[32:33], v[0:1], v[6:7]
	s_waitcnt vmcnt(0)
	v_mul_f64 v[0:1], v[60:61], v[4:5]
	v_fmac_f64_e32 v[32:33], v[0:1], v[12:13]
	v_mul_f64 v[0:1], v[80:81], v[4:5]
	v_fmac_f64_e32 v[32:33], v[0:1], v[10:11]
	;; [unrolled: 2-line block ×6, first 2 shown]
	v_mul_f64 v[0:1], v[64:65], v[2:3]
	scratch_load_dwordx4 v[64:67], off, off offset:672 ; 16-byte Folded Reload
	v_fmac_f64_e32 v[32:33], v[0:1], v[8:9]
	v_mul_f64 v[0:1], v[106:107], v[2:3]
	v_fmac_f64_e32 v[32:33], v[0:1], v[6:7]
	v_mul_f64 v[0:1], v[62:63], v[2:3]
	;; [unrolled: 2-line block ×7, first 2 shown]
	v_fmac_f64_e32 v[32:33], v[0:1], v[2:3]
	scratch_load_dwordx4 v[26:29], off, off offset:784 ; 16-byte Folded Reload
	s_waitcnt vmcnt(1)
	v_mul_f64 v[0:1], v[64:65], v[8:9]
	scratch_load_dwordx4 v[62:65], off, off offset:928 ; 16-byte Folded Reload
	v_fmac_f64_e32 v[32:33], v[0:1], v[8:9]
	s_waitcnt vmcnt(0)
	v_mul_f64 v[0:1], v[62:63], v[8:9]
	scratch_load_dwordx4 v[60:63], off, off offset:608 ; 16-byte Folded Reload
	v_fmac_f64_e32 v[32:33], v[0:1], v[6:7]
	s_waitcnt vmcnt(0)
	v_mul_f64 v[0:1], v[60:61], v[8:9]
	v_fmac_f64_e32 v[32:33], v[0:1], v[12:13]
	v_mul_f64 v[0:1], v[50:51], v[8:9]
	v_fmac_f64_e32 v[32:33], v[0:1], v[10:11]
	;; [unrolled: 2-line block ×11, first 2 shown]
	v_mul_f64 v[0:1], v[28:29], v[6:7]
	scratch_load_dwordx4 v[28:31], off, off offset:848 ; 16-byte Folded Reload
	scratch_load_dwordx4 v[66:69], off, off offset:656 ; 16-byte Folded Reload
	;; [unrolled: 1-line block ×3, first 2 shown]
	v_fmac_f64_e32 v[32:33], v[0:1], v[14:15]
	s_waitcnt vmcnt(2)
	v_mul_f64 v[0:1], v[28:29], v[12:13]
	v_fmac_f64_e32 v[32:33], v[0:1], v[4:5]
	v_mul_f64 v[0:1], v[116:117], v[12:13]
	scratch_load_dwordx4 v[26:29], off, off offset:880 ; 16-byte Folded Reload
	v_fmac_f64_e32 v[32:33], v[0:1], v[2:3]
	s_waitcnt vmcnt(2)
	v_mul_f64 v[0:1], v[66:67], v[12:13]
	scratch_load_dwordx4 v[64:67], off, off offset:768 ; 16-byte Folded Reload
	v_fmac_f64_e32 v[32:33], v[0:1], v[8:9]
	v_mul_f64 v[0:1], v[98:99], v[12:13]
	v_fmac_f64_e32 v[32:33], v[0:1], v[6:7]
	s_waitcnt vmcnt(2)
	v_mul_f64 v[0:1], v[60:61], v[12:13]
	v_fmac_f64_e32 v[32:33], v[0:1], v[12:13]
	v_mul_f64 v[0:1], v[34:35], v[12:13]
	v_fmac_f64_e32 v[32:33], v[0:1], v[10:11]
	s_waitcnt vmcnt(1)
	v_mul_f64 v[0:1], v[26:27], v[12:13]
	v_fmac_f64_e32 v[32:33], v[0:1], v[16:17]
	s_waitcnt vmcnt(0)
	v_mul_f64 v[0:1], v[64:65], v[12:13]
	v_fmac_f64_e32 v[32:33], v[0:1], v[14:15]
	v_mul_f64 v[0:1], v[30:31], v[10:11]
	v_fmac_f64_e32 v[32:33], v[0:1], v[4:5]
	;; [unrolled: 2-line block ×8, first 2 shown]
	v_mul_f64 v[0:1], v[66:67], v[10:11]
	scratch_load_dwordx4 v[64:67], off, off offset:640 ; 16-byte Folded Reload
	v_fmac_f64_e32 v[32:33], v[0:1], v[14:15]
	v_mul_f64 v[0:1], v[76:77], v[16:17]
	v_fmac_f64_e32 v[32:33], v[0:1], v[4:5]
	v_mul_f64 v[0:1], v[22:23], v[16:17]
	v_fmac_f64_e32 v[32:33], v[0:1], v[2:3]
	s_waitcnt vmcnt(0)
	v_mul_f64 v[0:1], v[64:65], v[16:17]
	scratch_load_dwordx4 v[62:65], off, off offset:832 ; 16-byte Folded Reload
	v_fmac_f64_e32 v[32:33], v[0:1], v[8:9]
	v_mul_f64 v[0:1], v[72:73], v[16:17]
	v_fmac_f64_e32 v[32:33], v[0:1], v[6:7]
	v_mul_f64 v[0:1], v[124:125], v[16:17]
	;; [unrolled: 2-line block ×3, first 2 shown]
	v_fmac_f64_e32 v[32:33], v[0:1], v[10:11]
	s_waitcnt vmcnt(0)
	v_mul_f64 v[0:1], v[62:63], v[16:17]
	scratch_load_dwordx4 v[60:63], off, off offset:512 ; 16-byte Folded Reload
	v_fmac_f64_e32 v[32:33], v[0:1], v[16:17]
	s_waitcnt vmcnt(0)
	v_mul_f64 v[0:1], v[60:61], v[16:17]
	v_fmac_f64_e32 v[32:33], v[0:1], v[14:15]
	v_mul_f64 v[0:1], v[78:79], v[14:15]
	v_fmac_f64_e32 v[32:33], v[0:1], v[4:5]
	;; [unrolled: 2-line block ×9, first 2 shown]
.LBB0_47:                               ;   in Loop: Header=BB0_41 Depth=1
	scratch_load_dwordx4 v[2:5], off, off offset:272 ; 16-byte Folded Reload
	scratch_load_dwordx4 v[42:45], off, off offset:368 ; 16-byte Folded Reload
	;; [unrolled: 1-line block ×3, first 2 shown]
	s_waitcnt vmcnt(18)
	v_mov_b64_e32 v[122:123], v[74:75]
	s_waitcnt vmcnt(11)
	scratch_store_dwordx4 off, v[56:59], off offset:720 ; 16-byte Folded Spill
	scratch_load_dwordx4 v[58:61], off, off offset:400 ; 16-byte Folded Reload
	v_mov_b64_e32 v[120:121], v[72:73]
	scratch_store_dwordx4 off, v[18:21], off offset:704 ; 16-byte Folded Spill
	s_waitcnt vmcnt(13)
	scratch_store_dwordx4 off, v[86:89], off offset:544 ; 16-byte Folded Spill
	scratch_load_dwordx4 v[86:89], off, off offset:176 ; 16-byte Folded Reload
	s_waitcnt vmcnt(7)
	v_fma_f64 v[18:19], v[2:3], v[90:91], 0
	v_fma_f64 v[16:17], v[4:5], v[90:91], 0
	scratch_load_dwordx4 v[2:5], off, off offset:464 ; 16-byte Folded Reload
	s_waitcnt vmcnt(7)
	v_fma_f64 v[14:15], v[42:43], v[90:91], 0
	v_fma_f64 v[12:13], v[44:45], v[90:91], 0
	scratch_store_dwordx4 off, v[80:83], off offset:496 ; 16-byte Folded Spill
	scratch_store_dwordx4 off, v[50:53], off offset:576 ; 16-byte Folded Spill
	s_waitcnt vmcnt(6)
	v_fma_f64 v[0:1], v[58:59], v[90:91], 0
	v_fma_f64 v[54:55], v[60:61], v[90:91], 0
	v_mov_b64_e32 v[82:83], v[104:105]
	s_waitcnt vmcnt(3)
	v_fmac_f64_e32 v[0:1], v[86:87], v[92:93]
	v_mov_b64_e32 v[64:65], v[0:1]
	v_fmac_f64_e32 v[54:55], v[88:89], v[92:93]
	v_mov_b64_e32 v[84:85], v[106:107]
	v_fmac_f64_e32 v[18:19], v[6:7], v[92:93]
	v_fmac_f64_e32 v[16:17], v[8:9], v[92:93]
	scratch_load_dwordx4 v[8:11], off, off offset:320 ; 16-byte Folded Reload
	scratch_load_dwordx4 v[50:53], off, off offset:848 ; 16-byte Folded Reload
	;; [unrolled: 1-line block ×7, first 2 shown]
	s_waitcnt vmcnt(9)
	v_fmac_f64_e32 v[14:15], v[2:3], v[92:93]
	v_fmac_f64_e32 v[12:13], v[4:5], v[92:93]
	scratch_load_dwordx4 v[2:5], off, off offset:416 ; 16-byte Folded Reload
	s_waitcnt vmcnt(5)
	v_fma_f64 v[30:31], v[66:67], v[90:91], 0
	v_fma_f64 v[20:21], v[68:69], v[90:91], 0
	scratch_store_dwordx4 off, v[34:37], off offset:560 ; 16-byte Folded Spill
	s_waitcnt vmcnt(1)
	v_fmac_f64_e32 v[64:65], v[2:3], v[108:109]
	scratch_load_dwordx4 v[0:3], off, off offset:192 ; 16-byte Folded Reload
	v_fmac_f64_e32 v[54:55], v[4:5], v[108:109]
	scratch_load_dwordx4 v[4:7], off, off offset:16 ; 16-byte Folded Reload
	s_waitcnt vmcnt(1)
	v_fmac_f64_e32 v[64:65], v[0:1], v[110:111]
	v_fmac_f64_e32 v[54:55], v[2:3], v[110:111]
	scratch_load_dwordx4 v[0:3], off, off   ; 16-byte Folded Reload
	s_waitcnt vmcnt(0)
	v_fmac_f64_e32 v[18:19], v[0:1], v[108:109]
	v_fmac_f64_e32 v[16:17], v[2:3], v[108:109]
	scratch_load_dwordx4 v[0:3], off, off offset:336 ; 16-byte Folded Reload
	v_fmac_f64_e32 v[18:19], v[94:95], v[110:111]
	v_fmac_f64_e32 v[16:17], v[96:97], v[110:111]
	scratch_load_dwordx4 v[94:97], off, off offset:448 ; 16-byte Folded Reload
	v_fmac_f64_e32 v[30:31], v[8:9], v[92:93]
	v_fmac_f64_e32 v[20:21], v[10:11], v[92:93]
	scratch_load_dwordx4 v[90:93], off, off offset:432 ; 16-byte Folded Reload
	v_fmac_f64_e32 v[20:21], v[40:41], v[108:109]
	v_fmac_f64_e32 v[30:31], v[38:39], v[108:109]
	s_waitcnt vmcnt(2)
	v_fmac_f64_e32 v[14:15], v[0:1], v[108:109]
	v_fmac_f64_e32 v[12:13], v[2:3], v[108:109]
	scratch_load_dwordx4 v[0:3], off, off offset:64 ; 16-byte Folded Reload
	s_waitcnt vmcnt(2)
	v_fmac_f64_e32 v[54:55], v[96:97], v[50:51]
	v_fmac_f64_e32 v[54:55], v[106:107], v[52:53]
	;; [unrolled: 1-line block ×4, first 2 shown]
	v_mov_b64_e32 v[62:63], v[12:13]
	v_fmac_f64_e32 v[64:65], v[94:95], v[50:51]
	v_fmac_f64_e32 v[64:65], v[104:105], v[52:53]
	s_waitcnt vmcnt(0)
	v_fmac_f64_e32 v[20:21], v[2:3], v[110:111]
	v_mov_b64_e32 v[2:3], v[54:55]
	scratch_load_dwordx4 v[54:57], off, off offset:480 ; 16-byte Folded Reload
	v_fmac_f64_e32 v[30:31], v[0:1], v[110:111]
	v_mov_b64_e32 v[110:111], v[48:49]
	v_mov_b64_e32 v[108:109], v[46:47]
	s_waitcnt vmcnt(0)
	v_fmac_f64_e32 v[18:19], v[54:55], v[50:51]
	v_fmac_f64_e32 v[16:17], v[56:57], v[50:51]
	;; [unrolled: 1-line block ×4, first 2 shown]
	v_mov_b64_e32 v[0:1], v[18:19]
	v_mov_b64_e32 v[28:29], v[16:17]
	scratch_load_dwordx4 v[16:19], off, off offset:208 ; 16-byte Folded Reload
	v_mov_b64_e32 v[34:35], v[0:1]
	s_waitcnt vmcnt(0)
	v_fmac_f64_e32 v[14:15], v[16:17], v[50:51]
	v_fmac_f64_e32 v[14:15], v[4:5], v[52:53]
	v_mov_b64_e32 v[26:27], v[14:15]
	v_fmac_f64_e32 v[62:63], v[18:19], v[50:51]
	scratch_load_dwordx4 v[16:19], off, off offset:80 ; 16-byte Folded Reload
	scratch_load_dwordx4 v[12:15], off, off offset:48 ; 16-byte Folded Reload
	v_fmac_f64_e32 v[62:63], v[6:7], v[52:53]
	s_waitcnt vmcnt(1)
	v_fmac_f64_e32 v[30:31], v[16:17], v[50:51]
	s_waitcnt vmcnt(0)
	v_fmac_f64_e32 v[2:3], v[14:15], v[76:77]
	v_fmac_f64_e32 v[64:65], v[12:13], v[76:77]
	;; [unrolled: 1-line block ×3, first 2 shown]
	scratch_load_dwordx4 v[12:15], off, off offset:112 ; 16-byte Folded Reload
	v_fmac_f64_e32 v[64:65], v[116:117], v[78:79]
	scratch_store_dwordx2 off, v[2:3], off offset:1008 ; 8-byte Folded Spill
	scratch_load_dwordx4 v[0:3], off, off offset:288 ; 16-byte Folded Reload
	v_fmac_f64_e32 v[20:21], v[18:19], v[50:51]
	scratch_store_dwordx2 off, v[64:65], off offset:1016 ; 8-byte Folded Spill
	v_fmac_f64_e32 v[30:31], v[112:113], v[52:53]
	v_fmac_f64_e32 v[20:21], v[114:115], v[52:53]
	s_waitcnt vmcnt(3)
	v_fmac_f64_e32 v[34:35], v[12:13], v[76:77]
	v_fmac_f64_e32 v[28:29], v[14:15], v[76:77]
	s_waitcnt vmcnt(1)
	v_fmac_f64_e32 v[34:35], v[0:1], v[78:79]
	v_fmac_f64_e32 v[28:29], v[2:3], v[78:79]
	scratch_store_dwordx2 off, v[34:35], off offset:1152 ; 8-byte Folded Spill
	scratch_store_dwordx2 off, v[28:29], off offset:1056 ; 8-byte Folded Spill
	scratch_load_dwordx4 v[12:15], off, off offset:752 ; 16-byte Folded Reload
	s_nop 0
	scratch_load_dwordx4 v[34:37], off, off offset:240 ; 16-byte Folded Reload
	scratch_load_dwordx4 v[50:53], off, off offset:96 ; 16-byte Folded Reload
	;; [unrolled: 1-line block ×4, first 2 shown]
	s_waitcnt vmcnt(3)
	v_fmac_f64_e32 v[26:27], v[34:35], v[76:77]
	v_fmac_f64_e32 v[62:63], v[36:37], v[76:77]
	s_waitcnt vmcnt(2)
	v_fmac_f64_e32 v[26:27], v[50:51], v[78:79]
	v_fmac_f64_e32 v[62:63], v[52:53], v[78:79]
	scratch_load_dwordx4 v[50:53], off, off offset:352 ; 16-byte Folded Reload
	s_waitcnt vmcnt(2)
	v_fmac_f64_e32 v[30:31], v[46:47], v[76:77]
	scratch_store_dwordx2 off, v[62:63], off offset:976 ; 8-byte Folded Spill
	v_fmac_f64_e32 v[20:21], v[48:49], v[76:77]
	v_mov_b64_e32 v[34:35], v[104:105]
	v_mov_b64_e32 v[36:37], v[106:107]
	v_mov_b64_e32 v[106:107], v[10:11]
	v_mov_b64_e32 v[104:105], v[8:9]
	scratch_store_dwordx2 off, v[26:27], off offset:984 ; 8-byte Folded Spill
	scratch_load_dwordx4 v[26:29], off, off offset:880 ; 16-byte Folded Reload
	s_waitcnt vmcnt(4)
	v_fma_f64 v[62:63], v[60:61], v[4:5], 0
	v_mov_b64_e32 v[10:11], v[6:7]
	v_fmac_f64_e32 v[62:63], v[88:89], v[6:7]
	v_mov_b64_e32 v[8:9], v[4:5]
	s_waitcnt vmcnt(3)
	v_fmac_f64_e32 v[30:31], v[50:51], v[78:79]
	scratch_store_dwordx2 off, v[30:31], off offset:848 ; 8-byte Folded Spill
	v_fma_f64 v[30:31], v[58:59], v[4:5], 0
	scratch_load_dwordx4 v[58:61], off, off offset:272 ; 16-byte Folded Reload
	v_fmac_f64_e32 v[30:31], v[86:87], v[6:7]
	scratch_load_dwordx4 v[86:89], off, off offset:160 ; 16-byte Folded Reload
	v_fmac_f64_e32 v[20:21], v[52:53], v[78:79]
	v_mov_b64_e32 v[76:77], v[108:109]
	v_mov_b64_e32 v[78:79], v[110:111]
	;; [unrolled: 1-line block ×4, first 2 shown]
	v_fma_f64 v[80:81], v[108:109], v[4:5], 0
	scratch_store_dwordx2 off, v[20:21], off offset:528 ; 8-byte Folded Spill
	v_fma_f64 v[20:21], v[66:67], v[8:9], 0
	v_fmac_f64_e32 v[20:21], v[104:105], v[10:11]
	v_mov_b64_e32 v[44:45], v[40:41]
	v_mov_b64_e32 v[42:43], v[38:39]
	v_fmac_f64_e32 v[20:21], v[42:43], v[76:77]
	v_mov_b64_e32 v[38:39], v[108:109]
	v_mov_b64_e32 v[40:41], v[110:111]
	s_waitcnt vmcnt(2)
	v_fma_f64 v[70:71], v[58:59], v[4:5], 0
	v_fma_f64 v[102:103], v[60:61], v[4:5], 0
	scratch_load_dwordx4 v[58:61], off, off offset:464 ; 16-byte Folded Reload
	s_waitcnt vmcnt(2)
	v_fmac_f64_e32 v[70:71], v[86:87], v[6:7]
	v_fmac_f64_e32 v[102:103], v[88:89], v[6:7]
	v_fma_f64 v[4:5], v[68:69], v[8:9], 0
	v_fmac_f64_e32 v[4:5], v[106:107], v[10:11]
	scratch_load_dwordx4 v[86:89], off, off offset:64 ; 16-byte Folded Reload
	v_fmac_f64_e32 v[4:5], v[44:45], v[76:77]
	s_waitcnt vmcnt(1)
	v_fmac_f64_e32 v[80:81], v[58:59], v[6:7]
	v_fma_f64 v[6:7], v[110:111], v[8:9], 0
	v_fmac_f64_e32 v[6:7], v[60:61], v[10:11]
	scratch_load_dwordx4 v[58:61], off, off offset:416 ; 16-byte Folded Reload
	scratch_load_dwordx4 v[8:11], off, off offset:192 ; 16-byte Folded Reload
	s_waitcnt vmcnt(1)
	v_fmac_f64_e32 v[30:31], v[58:59], v[76:77]
	v_fmac_f64_e32 v[62:63], v[60:61], v[76:77]
	s_waitcnt vmcnt(0)
	v_mov_b64_e32 v[66:67], v[10:11]
	scratch_load_dwordx4 v[58:61], off, off ; 16-byte Folded Reload
	v_fmac_f64_e32 v[30:31], v[8:9], v[78:79]
	v_fmac_f64_e32 v[62:63], v[10:11], v[78:79]
	v_mov_b64_e32 v[64:65], v[8:9]
	scratch_load_dwordx4 v[8:11], off, off offset:144 ; 16-byte Folded Reload
	v_fmac_f64_e32 v[30:31], v[94:95], v[12:13]
	v_fmac_f64_e32 v[62:63], v[96:97], v[12:13]
	;; [unrolled: 1-line block ×4, first 2 shown]
	scratch_load_dwordx4 v[34:37], off, off offset:16 ; 16-byte Folded Reload
	s_waitcnt vmcnt(2)
	v_fmac_f64_e32 v[70:71], v[58:59], v[76:77]
	v_fmac_f64_e32 v[102:103], v[60:61], v[76:77]
	v_mov_b64_e32 v[58:59], v[116:117]
	v_mov_b64_e32 v[60:61], v[118:119]
	s_waitcnt vmcnt(1)
	v_fmac_f64_e32 v[70:71], v[8:9], v[78:79]
	v_fmac_f64_e32 v[102:103], v[10:11], v[78:79]
	scratch_load_dwordx4 v[8:11], off, off offset:336 ; 16-byte Folded Reload
	v_fmac_f64_e32 v[102:103], v[56:57], v[12:13]
	v_fmac_f64_e32 v[102:103], v[92:93], v[14:15]
	;; [unrolled: 1-line block ×4, first 2 shown]
	s_waitcnt vmcnt(0)
	v_fmac_f64_e32 v[80:81], v[8:9], v[76:77]
	v_fmac_f64_e32 v[6:7], v[10:11], v[76:77]
	scratch_load_dwordx4 v[8:11], off, off offset:208 ; 16-byte Folded Reload
	v_fmac_f64_e32 v[80:81], v[72:73], v[78:79]
	v_fmac_f64_e32 v[6:7], v[74:75], v[78:79]
	s_waitcnt vmcnt(0)
	v_fmac_f64_e32 v[80:81], v[8:9], v[12:13]
	v_fmac_f64_e32 v[6:7], v[10:11], v[12:13]
	scratch_load_dwordx4 v[8:11], off, off offset:48 ; 16-byte Folded Reload
	v_fmac_f64_e32 v[20:21], v[86:87], v[78:79]
	v_fmac_f64_e32 v[4:5], v[88:89], v[78:79]
	;; [unrolled: 1-line block ×12, first 2 shown]
	scratch_store_dwordx2 off, v[20:21], off offset:752 ; 8-byte Folded Spill
	scratch_store_dwordx2 off, v[4:5], off offset:688 ; 8-byte Folded Spill
	v_mov_b64_e32 v[76:77], v[90:91]
	v_mov_b64_e32 v[78:79], v[92:93]
	;; [unrolled: 1-line block ×4, first 2 shown]
	s_waitcnt vmcnt(2)
	v_fmac_f64_e32 v[30:31], v[8:9], v[22:23]
	v_fmac_f64_e32 v[62:63], v[10:11], v[22:23]
	scratch_load_dwordx4 v[8:11], off, off offset:112 ; 16-byte Folded Reload
	v_fmac_f64_e32 v[62:63], v[60:61], v[24:25]
	scratch_store_dwordx2 off, v[62:63], off offset:1024 ; 8-byte Folded Spill
	v_fmac_f64_e32 v[30:31], v[58:59], v[24:25]
	s_waitcnt vmcnt(1)
	v_fmac_f64_e32 v[102:103], v[10:11], v[22:23]
	scratch_load_dwordx4 v[10:13], off, off offset:240 ; 16-byte Folded Reload
	v_fmac_f64_e32 v[70:71], v[8:9], v[22:23]
	v_fmac_f64_e32 v[70:71], v[0:1], v[24:25]
	;; [unrolled: 1-line block ×3, first 2 shown]
	scratch_store_dwordx2 off, v[70:71], off offset:1160 ; 8-byte Folded Spill
	scratch_store_dwordx2 off, v[102:103], off offset:1144 ; 8-byte Folded Spill
	s_waitcnt vmcnt(2)
	v_fmac_f64_e32 v[80:81], v[10:11], v[22:23]
	scratch_load_dwordx4 v[8:11], off, off offset:96 ; 16-byte Folded Reload
	v_fmac_f64_e32 v[6:7], v[12:13], v[22:23]
	s_waitcnt vmcnt(0)
	v_fmac_f64_e32 v[80:81], v[8:9], v[24:25]
	v_fmac_f64_e32 v[6:7], v[10:11], v[24:25]
	scratch_store_dwordx2 off, v[80:81], off offset:1000 ; 8-byte Folded Spill
	scratch_store_dwordx2 off, v[6:7], off offset:960 ; 8-byte Folded Spill
	scratch_load_dwordx4 v[8:11], off, off offset:800 ; 16-byte Folded Reload
	s_nop 0
	scratch_load_dwordx4 v[4:7], off, off offset:400 ; 16-byte Folded Reload
	scratch_load_dwordx4 v[116:119], off, off offset:176 ; 16-byte Folded Reload
	;; [unrolled: 1-line block ×5, first 2 shown]
	s_waitcnt vmcnt(5)
	v_fma_f64 v[14:15], v[40:41], v[8:9], 0
	s_waitcnt vmcnt(4)
	v_fma_f64 v[110:111], v[4:5], v[8:9], 0
	v_fma_f64 v[12:13], v[6:7], v[8:9], 0
	scratch_load_dwordx4 v[4:7], off, off offset:272 ; 16-byte Folded Reload
	v_fma_f64 v[80:81], v[38:39], v[8:9], 0
	scratch_load_dwordx4 v[38:41], off, off offset:736 ; 16-byte Folded Reload
	s_waitcnt vmcnt(5)
	v_fmac_f64_e32 v[12:13], v[118:119], v[10:11]
	v_fmac_f64_e32 v[110:111], v[116:117], v[10:11]
	s_waitcnt vmcnt(1)
	v_fma_f64 v[36:37], v[4:5], v[8:9], 0
	v_fma_f64 v[34:35], v[6:7], v[8:9], 0
	v_fmac_f64_e32 v[36:37], v[20:21], v[10:11]
	v_fmac_f64_e32 v[34:35], v[22:23], v[10:11]
	scratch_load_dwordx4 v[20:23], off, off offset:464 ; 16-byte Folded Reload
	s_waitcnt vmcnt(1)
	v_fma_f64 v[6:7], v[38:39], v[8:9], 0
	v_fma_f64 v[4:5], v[40:41], v[8:9], 0
	v_fmac_f64_e32 v[6:7], v[68:69], v[10:11]
	v_fmac_f64_e32 v[4:5], v[70:71], v[10:11]
	s_waitcnt vmcnt(0)
	v_fmac_f64_e32 v[14:15], v[22:23], v[10:11]
	scratch_load_dwordx4 v[22:25], off, off offset:672 ; 16-byte Folded Reload
	scratch_load_dwordx4 v[16:19], off, off offset:416 ; 16-byte Folded Reload
	v_fmac_f64_e32 v[80:81], v[20:21], v[10:11]
	v_mov_b64_e32 v[8:9], v[68:69]
	v_mov_b64_e32 v[10:11], v[70:71]
	s_waitcnt vmcnt(1)
	v_fmac_f64_e32 v[6:7], v[42:43], v[22:23]
	s_waitcnt vmcnt(0)
	v_fmac_f64_e32 v[12:13], v[18:19], v[22:23]
	scratch_load_dwordx4 v[18:21], off, off ; 16-byte Folded Reload
	v_fmac_f64_e32 v[110:111], v[16:17], v[22:23]
	v_fmac_f64_e32 v[110:111], v[64:65], v[24:25]
	scratch_load_dwordx4 v[62:65], off, off offset:208 ; 16-byte Folded Reload
	v_fmac_f64_e32 v[4:5], v[44:45], v[22:23]
	v_fmac_f64_e32 v[6:7], v[86:87], v[24:25]
	;; [unrolled: 1-line block ×4, first 2 shown]
	v_mov_b64_e32 v[42:43], v[54:55]
	v_mov_b64_e32 v[44:45], v[56:57]
	scratch_load_dwordx4 v[86:89], off, off offset:224 ; 16-byte Folded Reload
	s_waitcnt vmcnt(2)
	v_fmac_f64_e32 v[36:37], v[18:19], v[22:23]
	scratch_load_dwordx4 v[16:19], off, off offset:144 ; 16-byte Folded Reload
	v_fmac_f64_e32 v[34:35], v[20:21], v[22:23]
	s_waitcnt vmcnt(0)
	v_fmac_f64_e32 v[36:37], v[16:17], v[24:25]
	v_fmac_f64_e32 v[34:35], v[18:19], v[24:25]
	scratch_load_dwordx4 v[16:19], off, off offset:336 ; 16-byte Folded Reload
	s_waitcnt vmcnt(0)
	v_fmac_f64_e32 v[80:81], v[16:17], v[22:23]
	v_fmac_f64_e32 v[14:15], v[18:19], v[22:23]
	;; [unrolled: 1-line block ×4, first 2 shown]
	scratch_load_dwordx4 v[22:25], off, off offset:656 ; 16-byte Folded Reload
	s_waitcnt vmcnt(0)
	v_fmac_f64_e32 v[110:111], v[94:95], v[22:23]
	v_fmac_f64_e32 v[12:13], v[96:97], v[22:23]
	v_mov_b64_e32 v[96:97], v[88:89]
	v_fmac_f64_e32 v[110:111], v[86:87], v[24:25]
	v_fmac_f64_e32 v[12:13], v[88:89], v[24:25]
	v_mov_b64_e32 v[94:95], v[86:87]
	scratch_load_dwordx4 v[86:89], off, off offset:16 ; 16-byte Folded Reload
	v_fmac_f64_e32 v[36:37], v[54:55], v[22:23]
	v_fmac_f64_e32 v[34:35], v[56:57], v[22:23]
	;; [unrolled: 1-line block ×10, first 2 shown]
	v_mov_b64_e32 v[56:57], v[40:41]
	v_mov_b64_e32 v[54:55], v[38:39]
	s_waitcnt vmcnt(0)
	v_fmac_f64_e32 v[80:81], v[86:87], v[24:25]
	v_fmac_f64_e32 v[14:15], v[88:89], v[24:25]
	scratch_load_dwordx4 v[22:25], off, off offset:640 ; 16-byte Folded Reload
	scratch_load_dwordx4 v[16:19], off, off offset:48 ; 16-byte Folded Reload
	;; [unrolled: 1-line block ×4, first 2 shown]
	s_waitcnt vmcnt(3)
	v_fmac_f64_e32 v[6:7], v[46:47], v[22:23]
	s_waitcnt vmcnt(2)
	v_fmac_f64_e32 v[110:111], v[16:17], v[22:23]
	v_fmac_f64_e32 v[12:13], v[18:19], v[22:23]
	scratch_load_dwordx4 v[16:19], off, off offset:112 ; 16-byte Folded Reload
	v_fmac_f64_e32 v[4:5], v[48:49], v[22:23]
	v_fmac_f64_e32 v[6:7], v[50:51], v[24:25]
	;; [unrolled: 1-line block ×3, first 2 shown]
	scratch_store_dwordx2 off, v[6:7], off offset:672 ; 8-byte Folded Spill
	scratch_store_dwordx2 off, v[4:5], off offset:640 ; 8-byte Folded Spill
	scratch_load_dwordx4 v[4:7], off, off offset:400 ; 16-byte Folded Reload
	v_fmac_f64_e32 v[110:111], v[58:59], v[24:25]
	v_fmac_f64_e32 v[12:13], v[60:61], v[24:25]
	scratch_store_dwordx2 off, v[12:13], off offset:1032 ; 8-byte Folded Spill
	s_waitcnt vmcnt(4)
	v_fmac_f64_e32 v[34:35], v[18:19], v[22:23]
	scratch_load_dwordx4 v[18:21], off, off offset:160 ; 16-byte Folded Reload
	v_fmac_f64_e32 v[14:15], v[70:71], v[22:23]
	v_fmac_f64_e32 v[14:15], v[74:75], v[24:25]
	;; [unrolled: 1-line block ×4, first 2 shown]
	scratch_store_dwordx2 off, v[14:15], off offset:816 ; 8-byte Folded Spill
	scratch_load_dwordx4 v[14:17], off, off offset:272 ; 16-byte Folded Reload
	v_fmac_f64_e32 v[36:37], v[0:1], v[24:25]
	v_fmac_f64_e32 v[34:35], v[2:3], v[24:25]
	;; [unrolled: 1-line block ×3, first 2 shown]
	scratch_load_dwordx4 v[22:25], off, off offset:368 ; 16-byte Folded Reload
	s_waitcnt vmcnt(5)
	v_fma_f64 v[90:91], v[4:5], v[82:83], 0
	v_fma_f64 v[12:13], v[6:7], v[82:83], 0
	v_fmac_f64_e32 v[90:91], v[116:117], v[84:85]
	v_fmac_f64_e32 v[12:13], v[118:119], v[84:85]
	scratch_load_dwordx4 v[116:119], off, off offset:768 ; 16-byte Folded Reload
	s_waitcnt vmcnt(2)
	v_fma_f64 v[16:17], v[16:17], v[82:83], 0
	v_fma_f64 v[6:7], v[14:15], v[82:83], 0
	v_fmac_f64_e32 v[16:17], v[20:21], v[84:85]
	v_fmac_f64_e32 v[6:7], v[18:19], v[84:85]
	s_waitcnt vmcnt(1)
	v_fma_f64 v[14:15], v[22:23], v[82:83], 0
	scratch_load_dwordx4 v[20:23], off, off offset:464 ; 16-byte Folded Reload
	s_waitcnt vmcnt(0)
	v_fmac_f64_e32 v[14:15], v[20:21], v[84:85]
	v_mov_b64_e32 v[20:21], v[2:3]
	v_mov_b64_e32 v[18:19], v[0:1]
	v_fma_f64 v[0:1], v[24:25], v[82:83], 0
	v_fmac_f64_e32 v[0:1], v[22:23], v[84:85]
	v_fma_f64 v[22:23], v[38:39], v[82:83], 0
	v_fma_f64 v[24:25], v[40:41], v[82:83], 0
	scratch_store_dwordx2 off, v[36:37], off offset:1192 ; 8-byte Folded Spill
	scratch_store_dwordx2 off, v[34:35], off offset:1184 ; 8-byte Folded Spill
	;; [unrolled: 1-line block ×3, first 2 shown]
	v_fmac_f64_e32 v[22:23], v[8:9], v[84:85]
	v_fmac_f64_e32 v[24:25], v[10:11], v[84:85]
	v_mov_b64_e32 v[84:85], v[10:11]
	v_mov_b64_e32 v[82:83], v[8:9]
	scratch_load_dwordx4 v[8:11], off, off offset:928 ; 16-byte Folded Reload
	scratch_load_dwordx4 v[34:37], off, off offset:416 ; 16-byte Folded Reload
	scratch_load_dwordx4 v[2:5], off, off offset:192 ; 16-byte Folded Reload
	scratch_load_dwordx4 v[38:41], off, off offset:384 ; 16-byte Folded Reload
	s_waitcnt vmcnt(2)
	v_fmac_f64_e32 v[90:91], v[34:35], v[8:9]
	v_fmac_f64_e32 v[12:13], v[36:37], v[8:9]
	s_waitcnt vmcnt(1)
	v_fmac_f64_e32 v[90:91], v[2:3], v[10:11]
	v_fmac_f64_e32 v[12:13], v[4:5], v[10:11]
	scratch_load_dwordx4 v[2:5], off, off   ; 16-byte Folded Reload
	scratch_load_dwordx4 v[34:37], off, off offset:144 ; 16-byte Folded Reload
	s_waitcnt vmcnt(1)
	v_fmac_f64_e32 v[6:7], v[2:3], v[8:9]
	v_fmac_f64_e32 v[16:17], v[4:5], v[8:9]
	scratch_load_dwordx4 v[2:5], off, off offset:336 ; 16-byte Folded Reload
	s_waitcnt vmcnt(1)
	v_fmac_f64_e32 v[6:7], v[34:35], v[10:11]
	v_fmac_f64_e32 v[16:17], v[36:37], v[10:11]
	v_fmac_f64_e32 v[6:7], v[42:43], v[98:99]
	v_fmac_f64_e32 v[16:17], v[44:45], v[98:99]
	v_fmac_f64_e32 v[6:7], v[76:77], v[100:101]
	v_fmac_f64_e32 v[16:17], v[78:79], v[100:101]
	s_waitcnt vmcnt(0)
	v_fmac_f64_e32 v[0:1], v[4:5], v[8:9]
	v_fmac_f64_e32 v[0:1], v[40:41], v[10:11]
	;; [unrolled: 1-line block ×3, first 2 shown]
	v_mov_b64_e32 v[66:67], v[0:1]
	scratch_load_dwordx4 v[0:3], off, off offset:32 ; 16-byte Folded Reload
	v_fmac_f64_e32 v[14:15], v[38:39], v[10:11]
	scratch_load_dwordx4 v[38:41], off, off offset:64 ; 16-byte Folded Reload
	v_mov_b64_e32 v[4:5], v[24:25]
	v_fmac_f64_e32 v[14:15], v[62:63], v[98:99]
	v_fmac_f64_e32 v[14:15], v[86:87], v[100:101]
	;; [unrolled: 1-line block ×4, first 2 shown]
	scratch_store_dwordx2 off, v[14:15], off offset:928 ; 8-byte Folded Spill
	s_waitcnt vmcnt(2)
	v_fmac_f64_e32 v[22:23], v[0:1], v[8:9]
	v_fmac_f64_e32 v[4:5], v[2:3], v[8:9]
	scratch_load_dwordx4 v[0:3], off, off offset:448 ; 16-byte Folded Reload
	s_waitcnt vmcnt(2)
	v_fmac_f64_e32 v[22:23], v[38:39], v[10:11]
	v_fmac_f64_e32 v[4:5], v[40:41], v[10:11]
	scratch_load_dwordx4 v[8:11], off, off offset:80 ; 16-byte Folded Reload
	s_waitcnt vmcnt(1)
	v_fmac_f64_e32 v[90:91], v[0:1], v[98:99]
	v_mov_b64_e32 v[0:1], v[66:67]
	v_fmac_f64_e32 v[12:13], v[2:3], v[98:99]
	v_fmac_f64_e32 v[0:1], v[64:65], v[98:99]
	s_waitcnt vmcnt(0)
	v_fmac_f64_e32 v[22:23], v[8:9], v[98:99]
	v_fmac_f64_e32 v[4:5], v[10:11], v[98:99]
	;; [unrolled: 1-line block ×7, first 2 shown]
	scratch_load_dwordx4 v[98:101], off, off offset:48 ; 16-byte Folded Reload
	scratch_load_dwordx4 v[8:11], off, off offset:112 ; 16-byte Folded Reload
	v_fmac_f64_e32 v[0:1], v[70:71], v[120:121]
	v_fmac_f64_e32 v[22:23], v[46:47], v[120:121]
	;; [unrolled: 1-line block ×6, first 2 shown]
	scratch_store_dwordx2 off, v[0:1], off offset:864 ; 8-byte Folded Spill
	scratch_store_dwordx2 off, v[22:23], off offset:800 ; 8-byte Folded Spill
	;; [unrolled: 1-line block ×3, first 2 shown]
	v_mov_b64_e32 v[96:97], v[36:37]
	v_mov_b64_e32 v[94:95], v[34:35]
	;; [unrolled: 1-line block ×4, first 2 shown]
	s_waitcnt vmcnt(4)
	v_fmac_f64_e32 v[90:91], v[98:99], v[120:121]
	s_waitcnt vmcnt(3)
	v_fmac_f64_e32 v[6:7], v[8:9], v[120:121]
	v_fmac_f64_e32 v[16:17], v[10:11], v[120:121]
	;; [unrolled: 1-line block ×4, first 2 shown]
	scratch_store_dwordx2 off, v[6:7], off offset:1224 ; 8-byte Folded Spill
	scratch_store_dwordx2 off, v[16:17], off offset:1208 ; 8-byte Folded Spill
	scratch_load_dwordx4 v[0:3], off, off offset:624 ; 16-byte Folded Reload
	s_nop 0
	scratch_load_dwordx4 v[6:9], off, off offset:400 ; 16-byte Folded Reload
	v_fmac_f64_e32 v[12:13], v[100:101], v[120:121]
	scratch_load_dwordx4 v[18:21], off, off offset:464 ; 16-byte Folded Reload
	v_fmac_f64_e32 v[90:91], v[58:59], v[122:123]
	v_fmac_f64_e32 v[12:13], v[60:61], v[122:123]
	scratch_load_dwordx4 v[38:41], off, off offset:368 ; 16-byte Folded Reload
	s_waitcnt vmcnt(3)
	v_fma_f64 v[10:11], v[54:55], v[0:1], 0
	s_waitcnt vmcnt(2)
	v_fma_f64 v[120:121], v[6:7], v[0:1], 0
	scratch_load_dwordx4 v[4:7], off, off offset:176 ; 16-byte Folded Reload
	v_fma_f64 v[70:71], v[8:9], v[0:1], 0
	v_fmac_f64_e32 v[10:11], v[82:83], v[2:3]
	s_waitcnt vmcnt(2)
	v_mov_b64_e32 v[60:61], v[20:21]
	v_mov_b64_e32 v[58:59], v[18:19]
	s_waitcnt vmcnt(1)
	v_fma_f64 v[80:81], v[38:39], v[0:1], 0
	v_fma_f64 v[14:15], v[40:41], v[0:1], 0
	v_mov_b64_e32 v[74:75], v[40:41]
	v_fmac_f64_e32 v[80:81], v[18:19], v[2:3]
	v_fmac_f64_e32 v[14:15], v[20:21], v[2:3]
	v_mov_b64_e32 v[72:73], v[38:39]
	v_mov_b64_e32 v[38:39], v[82:83]
	;; [unrolled: 1-line block ×5, first 2 shown]
	s_waitcnt vmcnt(0)
	v_fmac_f64_e32 v[70:71], v[6:7], v[2:3]
	scratch_load_dwordx4 v[6:9], off, off offset:272 ; 16-byte Folded Reload
	v_fmac_f64_e32 v[120:121], v[4:5], v[2:3]
	s_waitcnt vmcnt(0)
	v_fma_f64 v[108:109], v[6:7], v[0:1], 0
	scratch_load_dwordx4 v[4:7], off, off offset:160 ; 16-byte Folded Reload
	v_fma_f64 v[24:25], v[8:9], v[0:1], 0
	s_waitcnt vmcnt(0)
	v_fmac_f64_e32 v[108:109], v[4:5], v[2:3]
	v_fmac_f64_e32 v[24:25], v[6:7], v[2:3]
	v_fma_f64 v[4:5], v[56:57], v[0:1], 0
	scratch_load_dwordx4 v[42:45], off, off offset:608 ; 16-byte Folded Reload
	scratch_load_dwordx4 v[6:9], off, off offset:416 ; 16-byte Folded Reload
	v_fmac_f64_e32 v[4:5], v[84:85], v[2:3]
	scratch_load_dwordx4 v[0:3], off, off offset:192 ; 16-byte Folded Reload
	s_waitcnt vmcnt(1)
	v_fmac_f64_e32 v[120:121], v[6:7], v[42:43]
	v_fmac_f64_e32 v[70:71], v[8:9], v[42:43]
	s_waitcnt vmcnt(0)
	v_fmac_f64_e32 v[120:121], v[0:1], v[44:45]
	v_fmac_f64_e32 v[70:71], v[2:3], v[44:45]
	scratch_load_dwordx4 v[0:3], off, off   ; 16-byte Folded Reload
	scratch_load_dwordx4 v[6:9], off, off offset:384 ; 16-byte Folded Reload
	s_waitcnt vmcnt(1)
	v_fmac_f64_e32 v[108:109], v[0:1], v[42:43]
	v_fmac_f64_e32 v[24:25], v[2:3], v[42:43]
	scratch_load_dwordx4 v[0:3], off, off offset:336 ; 16-byte Folded Reload
	v_fmac_f64_e32 v[108:109], v[94:95], v[44:45]
	v_fmac_f64_e32 v[24:25], v[96:97], v[44:45]
	s_waitcnt vmcnt(0)
	v_fmac_f64_e32 v[80:81], v[0:1], v[42:43]
	v_fmac_f64_e32 v[14:15], v[2:3], v[42:43]
	;; [unrolled: 1-line block ×3, first 2 shown]
	v_mov_b64_e32 v[18:19], v[2:3]
	v_fmac_f64_e32 v[14:15], v[8:9], v[44:45]
	scratch_load_dwordx4 v[6:9], off, off offset:32 ; 16-byte Folded Reload
	v_mov_b64_e32 v[16:17], v[0:1]
	scratch_load_dwordx4 v[0:3], off, off offset:64 ; 16-byte Folded Reload
	s_waitcnt vmcnt(1)
	v_fmac_f64_e32 v[10:11], v[6:7], v[42:43]
	v_fmac_f64_e32 v[4:5], v[8:9], v[42:43]
	s_waitcnt vmcnt(0)
	v_fmac_f64_e32 v[10:11], v[0:1], v[44:45]
	v_fmac_f64_e32 v[4:5], v[2:3], v[44:45]
	scratch_load_dwordx4 v[42:45], off, off offset:912 ; 16-byte Folded Reload
	scratch_load_dwordx4 v[46:49], off, off offset:448 ; 16-byte Folded Reload
	;; [unrolled: 1-line block ×6, first 2 shown]
	s_waitcnt vmcnt(5)
	v_fmac_f64_e32 v[80:81], v[62:63], v[42:43]
	s_waitcnt vmcnt(4)
	v_fmac_f64_e32 v[120:121], v[46:47], v[42:43]
	v_fmac_f64_e32 v[70:71], v[48:49], v[42:43]
	s_waitcnt vmcnt(3)
	v_fmac_f64_e32 v[120:121], v[0:1], v[44:45]
	v_fmac_f64_e32 v[70:71], v[2:3], v[44:45]
	scratch_load_dwordx4 v[0:3], off, off offset:80 ; 16-byte Folded Reload
	v_fmac_f64_e32 v[120:121], v[98:99], v[124:125]
	v_fmac_f64_e32 v[70:71], v[100:101], v[124:125]
	scratch_load_dwordx4 v[98:101], off, off offset:288 ; 16-byte Folded Reload
	s_waitcnt vmcnt(3)
	v_fmac_f64_e32 v[120:121], v[6:7], v[126:127]
	v_fmac_f64_e32 v[70:71], v[8:9], v[126:127]
	scratch_load_dwordx4 v[6:9], off, off offset:240 ; 16-byte Folded Reload
	v_fmac_f64_e32 v[14:15], v[64:65], v[42:43]
	v_fmac_f64_e32 v[80:81], v[86:87], v[44:45]
	;; [unrolled: 1-line block ×3, first 2 shown]
	v_mov_b64_e32 v[88:89], v[74:75]
	v_mov_b64_e32 v[86:87], v[72:73]
	s_waitcnt vmcnt(2)
	v_fmac_f64_e32 v[10:11], v[0:1], v[42:43]
	v_fmac_f64_e32 v[4:5], v[2:3], v[42:43]
	;; [unrolled: 1-line block ×4, first 2 shown]
	scratch_load_dwordx4 v[112:115], off, off offset:112 ; 16-byte Folded Reload
	scratch_load_dwordx4 v[0:3], off, off offset:96 ; 16-byte Folded Reload
	s_waitcnt vmcnt(2)
	v_fmac_f64_e32 v[80:81], v[6:7], v[124:125]
	v_fmac_f64_e32 v[14:15], v[8:9], v[124:125]
	;; [unrolled: 1-line block ×4, first 2 shown]
	s_waitcnt vmcnt(0)
	v_fmac_f64_e32 v[80:81], v[0:1], v[126:127]
	v_fmac_f64_e32 v[14:15], v[2:3], v[126:127]
	scratch_load_dwordx4 v[0:3], off, off offset:352 ; 16-byte Folded Reload
	v_fmac_f64_e32 v[24:25], v[52:53], v[42:43]
	v_fmac_f64_e32 v[24:25], v[68:69], v[44:45]
	;; [unrolled: 1-line block ×4, first 2 shown]
	scratch_store_dwordx2 off, v[24:25], off offset:1216 ; 8-byte Folded Spill
	scratch_store_dwordx2 off, v[80:81], off offset:1048 ; 8-byte Folded Spill
	;; [unrolled: 1-line block ×3, first 2 shown]
	v_fmac_f64_e32 v[108:109], v[50:51], v[42:43]
	v_fmac_f64_e32 v[108:109], v[66:67], v[44:45]
	;; [unrolled: 1-line block ×4, first 2 shown]
	s_waitcnt vmcnt(3)
	v_fmac_f64_e32 v[10:11], v[0:1], v[126:127]
	v_fmac_f64_e32 v[4:5], v[2:3], v[126:127]
	scratch_store_dwordx2 off, v[10:11], off offset:624 ; 8-byte Folded Spill
	scratch_store_dwordx2 off, v[4:5], off offset:608 ; 8-byte Folded Spill
	scratch_load_dwordx4 v[0:3], off, off offset:400 ; 16-byte Folded Reload
	scratch_load_dwordx4 v[34:37], off, off offset:496 ; 16-byte Folded Reload
	;; [unrolled: 1-line block ×3, first 2 shown]
	s_waitcnt vmcnt(1)
	v_fma_f64 v[42:43], v[0:1], v[34:35], 0
	scratch_load_dwordx4 v[4:7], off, off offset:176 ; 16-byte Folded Reload
	v_fma_f64 v[92:93], v[2:3], v[34:35], 0
	scratch_load_dwordx4 v[0:3], off, off offset:160 ; 16-byte Folded Reload
	s_waitcnt vmcnt(2)
	v_fma_f64 v[8:9], v[76:77], v[34:35], 0
	v_fma_f64 v[24:25], v[78:79], v[34:35], 0
	;; [unrolled: 1-line block ×4, first 2 shown]
	v_fmac_f64_e32 v[14:15], v[58:59], v[36:37]
	v_fmac_f64_e32 v[10:11], v[40:41], v[36:37]
	s_waitcnt vmcnt(1)
	v_fmac_f64_e32 v[42:43], v[4:5], v[36:37]
	v_fmac_f64_e32 v[92:93], v[6:7], v[36:37]
	s_waitcnt vmcnt(0)
	v_fmac_f64_e32 v[8:9], v[0:1], v[36:37]
	v_fmac_f64_e32 v[24:25], v[2:3], v[36:37]
	v_fma_f64 v[2:3], v[74:75], v[34:35], 0
	v_fma_f64 v[0:1], v[20:21], v[34:35], 0
	v_fmac_f64_e32 v[2:3], v[60:61], v[36:37]
	v_fmac_f64_e32 v[0:1], v[38:39], v[36:37]
	scratch_load_dwordx4 v[34:37], off, off offset:576 ; 16-byte Folded Reload
	scratch_load_dwordx4 v[122:125], off, off offset:416 ; 16-byte Folded Reload
	;; [unrolled: 1-line block ×3, first 2 shown]
	v_mov_b64_e32 v[74:75], v[60:61]
	v_mov_b64_e32 v[72:73], v[58:59]
	v_mov_b64_e32 v[58:59], v[40:41]
	v_mov_b64_e32 v[56:57], v[38:39]
	scratch_load_dwordx4 v[38:41], off, off offset:64 ; 16-byte Folded Reload
	s_waitcnt vmcnt(3)
	v_fmac_f64_e32 v[14:15], v[16:17], v[34:35]
	s_waitcnt vmcnt(2)
	v_fmac_f64_e32 v[42:43], v[122:123], v[34:35]
	v_fmac_f64_e32 v[92:93], v[124:125], v[34:35]
	s_waitcnt vmcnt(1)
	v_fmac_f64_e32 v[42:43], v[4:5], v[36:37]
	v_fmac_f64_e32 v[92:93], v[6:7], v[36:37]
	scratch_load_dwordx4 v[4:7], off, off   ; 16-byte Folded Reload
	v_fmac_f64_e32 v[2:3], v[18:19], v[34:35]
	s_waitcnt vmcnt(0)
	v_fmac_f64_e32 v[8:9], v[4:5], v[34:35]
	v_fmac_f64_e32 v[24:25], v[6:7], v[34:35]
	scratch_load_dwordx4 v[4:7], off, off offset:384 ; 16-byte Folded Reload
	v_fmac_f64_e32 v[8:9], v[94:95], v[36:37]
	v_fmac_f64_e32 v[24:25], v[96:97], v[36:37]
	s_waitcnt vmcnt(0)
	v_mov_b64_e32 v[18:19], v[6:7]
	v_fmac_f64_e32 v[14:15], v[4:5], v[36:37]
	v_fmac_f64_e32 v[2:3], v[6:7], v[36:37]
	v_mov_b64_e32 v[16:17], v[4:5]
	scratch_load_dwordx4 v[4:7], off, off offset:32 ; 16-byte Folded Reload
	s_waitcnt vmcnt(0)
	v_fmac_f64_e32 v[0:1], v[4:5], v[34:35]
	v_fmac_f64_e32 v[10:11], v[6:7], v[34:35]
	;; [unrolled: 1-line block ×4, first 2 shown]
	scratch_load_dwordx4 v[34:37], off, off offset:560 ; 16-byte Folded Reload
	scratch_load_dwordx4 v[4:7], off, off offset:224 ; 16-byte Folded Reload
	;; [unrolled: 1-line block ×3, first 2 shown]
	s_waitcnt vmcnt(2)
	v_fmac_f64_e32 v[42:43], v[46:47], v[34:35]
	v_fmac_f64_e32 v[92:93], v[48:49], v[34:35]
	s_waitcnt vmcnt(1)
	v_fmac_f64_e32 v[42:43], v[4:5], v[36:37]
	v_fmac_f64_e32 v[92:93], v[6:7], v[36:37]
	scratch_load_dwordx4 v[4:7], off, off offset:16 ; 16-byte Folded Reload
	v_fmac_f64_e32 v[14:15], v[62:63], v[34:35]
	v_fmac_f64_e32 v[2:3], v[64:65], v[34:35]
	v_fmac_f64_e32 v[8:9], v[50:51], v[34:35]
	v_fmac_f64_e32 v[24:25], v[52:53], v[34:35]
	v_fmac_f64_e32 v[8:9], v[66:67], v[36:37]
	v_fmac_f64_e32 v[24:25], v[68:69], v[36:37]
	s_waitcnt vmcnt(0)
	v_fmac_f64_e32 v[14:15], v[4:5], v[36:37]
	v_fmac_f64_e32 v[2:3], v[6:7], v[36:37]
	scratch_load_dwordx4 v[4:7], off, off offset:80 ; 16-byte Folded Reload
	s_waitcnt vmcnt(0)
	v_fmac_f64_e32 v[0:1], v[4:5], v[34:35]
	v_fmac_f64_e32 v[10:11], v[6:7], v[34:35]
	;; [unrolled: 1-line block ×4, first 2 shown]
	scratch_load_dwordx4 v[38:41], off, off offset:544 ; 16-byte Folded Reload
	scratch_load_dwordx4 v[4:7], off, off offset:48 ; 16-byte Folded Reload
	;; [unrolled: 1-line block ×3, first 2 shown]
	s_waitcnt vmcnt(2)
	v_fmac_f64_e32 v[0:1], v[82:83], v[38:39]
	s_waitcnt vmcnt(1)
	v_fmac_f64_e32 v[42:43], v[4:5], v[38:39]
	v_fmac_f64_e32 v[92:93], v[6:7], v[38:39]
	scratch_load_dwordx4 v[4:7], off, off offset:240 ; 16-byte Folded Reload
	s_waitcnt vmcnt(1)
	v_fmac_f64_e32 v[42:43], v[34:35], v[40:41]
	v_fmac_f64_e32 v[92:93], v[36:37], v[40:41]
	scratch_load_dwordx4 v[34:37], off, off offset:96 ; 16-byte Folded Reload
	v_fmac_f64_e32 v[10:11], v[84:85], v[38:39]
	v_fmac_f64_e32 v[8:9], v[112:113], v[38:39]
	;; [unrolled: 1-line block ×3, first 2 shown]
	v_mov_b64_e32 v[114:115], v[78:79]
	v_mov_b64_e32 v[112:113], v[76:77]
	;; [unrolled: 1-line block ×6, first 2 shown]
	v_fmac_f64_e32 v[8:9], v[98:99], v[40:41]
	v_fmac_f64_e32 v[24:25], v[100:101], v[40:41]
	s_waitcnt vmcnt(1)
	v_fmac_f64_e32 v[2:3], v[6:7], v[38:39]
	v_fmac_f64_e32 v[14:15], v[4:5], v[38:39]
	s_waitcnt vmcnt(0)
	v_fmac_f64_e32 v[2:3], v[36:37], v[40:41]
	scratch_store_dwordx2 off, v[2:3], off offset:1232 ; 8-byte Folded Spill
	scratch_load_dwordx4 v[2:5], off, off offset:352 ; 16-byte Folded Reload
	v_fmac_f64_e32 v[14:15], v[34:35], v[40:41]
	scratch_store_dwordx2 off, v[14:15], off offset:1240 ; 8-byte Folded Spill
	s_waitcnt vmcnt(1)
	v_fmac_f64_e32 v[0:1], v[2:3], v[40:41]
	v_fmac_f64_e32 v[10:11], v[4:5], v[40:41]
	scratch_store_dwordx2 off, v[0:1], off offset:560 ; 8-byte Folded Spill
	scratch_store_dwordx2 off, v[10:11], off offset:496 ; 8-byte Folded Spill
	scratch_load_dwordx4 v[34:37], off, off offset:400 ; 16-byte Folded Reload
	scratch_load_dwordx4 v[50:53], off, off offset:896 ; 16-byte Folded Reload
	;; [unrolled: 1-line block ×3, first 2 shown]
	v_mov_b64_e32 v[0:1], v[82:83]
	v_mov_b64_e32 v[2:3], v[84:85]
	;; [unrolled: 1-line block ×4, first 2 shown]
	scratch_load_dwordx4 v[62:65], off, off offset:192 ; 16-byte Folded Reload
	s_waitcnt vmcnt(2)
	v_fma_f64 v[44:45], v[34:35], v[50:51], 0
	v_fma_f64 v[38:39], v[36:37], v[50:51], 0
	scratch_load_dwordx4 v[34:37], off, off offset:160 ; 16-byte Folded Reload
	s_waitcnt vmcnt(2)
	v_fmac_f64_e32 v[44:45], v[4:5], v[52:53]
	v_fmac_f64_e32 v[38:39], v[6:7], v[52:53]
	v_fma_f64 v[76:77], v[112:113], v[50:51], 0
	v_mov_b64_e32 v[4:5], v[16:17]
	v_mov_b64_e32 v[6:7], v[18:19]
	v_fma_f64 v[10:11], v[22:23], v[50:51], 0
	scratch_load_dwordx4 v[16:19], off, off ; 16-byte Folded Reload
	v_fma_f64 v[14:15], v[114:115], v[50:51], 0
	v_fmac_f64_e32 v[10:11], v[58:59], v[52:53]
	v_mov_b64_e32 v[60:61], v[58:59]
	v_mov_b64_e32 v[58:59], v[56:57]
	v_fma_f64 v[48:49], v[86:87], v[50:51], 0
	v_fmac_f64_e32 v[48:49], v[78:79], v[52:53]
	s_waitcnt vmcnt(1)
	v_fmac_f64_e32 v[76:77], v[34:35], v[52:53]
	v_fma_f64 v[34:35], v[20:21], v[50:51], 0
	scratch_load_dwordx4 v[20:23], off, off offset:720 ; 16-byte Folded Reload
	v_fmac_f64_e32 v[14:15], v[36:37], v[52:53]
	v_fmac_f64_e32 v[34:35], v[56:57], v[52:53]
	scratch_load_dwordx4 v[54:57], off, off offset:64 ; 16-byte Folded Reload
	v_fma_f64 v[36:37], v[88:89], v[50:51], 0
	v_fmac_f64_e32 v[36:37], v[80:81], v[52:53]
	s_waitcnt vmcnt(1)
	v_fmac_f64_e32 v[76:77], v[16:17], v[20:21]
	v_fmac_f64_e32 v[14:15], v[18:19], v[20:21]
	scratch_load_dwordx4 v[16:19], off, off offset:336 ; 16-byte Folded Reload
	v_fmac_f64_e32 v[44:45], v[122:123], v[20:21]
	v_fmac_f64_e32 v[38:39], v[124:125], v[20:21]
	;; [unrolled: 1-line block ×4, first 2 shown]
	s_waitcnt vmcnt(0)
	v_fmac_f64_e32 v[48:49], v[16:17], v[20:21]
	v_fmac_f64_e32 v[36:37], v[18:19], v[20:21]
	scratch_load_dwordx4 v[16:19], off, off offset:32 ; 16-byte Folded Reload
	v_fmac_f64_e32 v[44:45], v[62:63], v[22:23]
	v_fmac_f64_e32 v[38:39], v[64:65], v[22:23]
	;; [unrolled: 1-line block ×6, first 2 shown]
	s_waitcnt vmcnt(0)
	v_fmac_f64_e32 v[34:35], v[16:17], v[20:21]
	v_fmac_f64_e32 v[10:11], v[18:19], v[20:21]
	scratch_load_dwordx4 v[18:21], off, off offset:448 ; 16-byte Folded Reload
	v_fmac_f64_e32 v[34:35], v[54:55], v[22:23]
	v_fmac_f64_e32 v[10:11], v[56:57], v[22:23]
	s_waitcnt vmcnt(0)
	v_fmac_f64_e32 v[44:45], v[18:19], v[26:27]
	scratch_load_dwordx4 v[16:19], off, off offset:224 ; 16-byte Folded Reload
	v_fmac_f64_e32 v[38:39], v[20:21], v[26:27]
	scratch_load_dwordx4 v[20:23], off, off offset:128 ; 16-byte Folded Reload
	s_waitcnt vmcnt(1)
	v_fmac_f64_e32 v[44:45], v[16:17], v[28:29]
	v_fmac_f64_e32 v[38:39], v[18:19], v[28:29]
	scratch_load_dwordx4 v[16:19], off, off offset:480 ; 16-byte Folded Reload
	s_waitcnt vmcnt(0)
	v_fmac_f64_e32 v[76:77], v[16:17], v[26:27]
	v_fmac_f64_e32 v[14:15], v[18:19], v[26:27]
	scratch_load_dwordx4 v[16:19], off, off offset:16 ; 16-byte Folded Reload
	v_fmac_f64_e32 v[76:77], v[66:67], v[28:29]
	v_fmac_f64_e32 v[14:15], v[68:69], v[28:29]
	s_waitcnt vmcnt(0)
	v_fmac_f64_e32 v[48:49], v[16:17], v[28:29]
	v_fmac_f64_e32 v[36:37], v[18:19], v[28:29]
	scratch_load_dwordx4 v[16:19], off, off offset:80 ; 16-byte Folded Reload
	s_waitcnt vmcnt(0)
	v_fmac_f64_e32 v[34:35], v[16:17], v[26:27]
	v_fmac_f64_e32 v[10:11], v[18:19], v[26:27]
	;; [unrolled: 1-line block ×4, first 2 shown]
	scratch_load_dwordx4 v[20:23], off, off offset:832 ; 16-byte Folded Reload
	scratch_load_dwordx4 v[26:29], off, off offset:48 ; 16-byte Folded Reload
	;; [unrolled: 1-line block ×4, first 2 shown]
	s_waitcnt vmcnt(3)
	v_fmac_f64_e32 v[34:35], v[0:1], v[20:21]
	s_waitcnt vmcnt(2)
	v_fmac_f64_e32 v[44:45], v[26:27], v[20:21]
	v_fmac_f64_e32 v[38:39], v[28:29], v[20:21]
	s_waitcnt vmcnt(1)
	v_fmac_f64_e32 v[44:45], v[16:17], v[22:23]
	v_fmac_f64_e32 v[38:39], v[18:19], v[22:23]
	scratch_load_dwordx4 v[16:19], off, off offset:240 ; 16-byte Folded Reload
	scratch_load_dwordx4 v[26:29], off, off offset:96 ; 16-byte Folded Reload
	v_fmac_f64_e32 v[10:11], v[2:3], v[20:21]
	s_waitcnt vmcnt(2)
	v_fmac_f64_e32 v[76:77], v[66:67], v[20:21]
	v_fmac_f64_e32 v[14:15], v[68:69], v[20:21]
	;; [unrolled: 1-line block ×4, first 2 shown]
	s_waitcnt vmcnt(1)
	v_fmac_f64_e32 v[48:49], v[16:17], v[20:21]
	v_fmac_f64_e32 v[36:37], v[18:19], v[20:21]
	scratch_load_dwordx4 v[16:19], off, off offset:352 ; 16-byte Folded Reload
	s_waitcnt vmcnt(1)
	v_fmac_f64_e32 v[36:37], v[28:29], v[22:23]
	scratch_store_dwordx2 off, v[36:37], off offset:1200 ; 8-byte Folded Spill
	v_fmac_f64_e32 v[48:49], v[26:27], v[22:23]
	s_waitcnt vmcnt(1)
	v_fmac_f64_e32 v[34:35], v[16:17], v[22:23]
	v_fmac_f64_e32 v[10:11], v[18:19], v[22:23]
	scratch_store_dwordx2 off, v[34:35], off offset:1176 ; 8-byte Folded Spill
	scratch_store_dwordx2 off, v[10:11], off offset:544 ; 8-byte Folded Spill
	scratch_load_dwordx4 v[26:29], off, off offset:400 ; 16-byte Folded Reload
	scratch_load_dwordx4 v[98:101], off, off offset:704 ; 16-byte Folded Reload
	;; [unrolled: 1-line block ×3, first 2 shown]
	v_mov_b64_e32 v[34:35], v[62:63]
	v_mov_b64_e32 v[36:37], v[64:65]
	scratch_load_dwordx4 v[62:65], off, off offset:368 ; 16-byte Folded Reload
	scratch_load_dwordx4 v[50:53], off, off offset:784 ; 16-byte Folded Reload
	;; [unrolled: 1-line block ×3, first 2 shown]
	s_waitcnt vmcnt(4)
	v_fma_f64 v[46:47], v[26:27], v[98:99], 0
	v_fma_f64 v[40:41], v[28:29], v[98:99], 0
	s_waitcnt vmcnt(3)
	v_fmac_f64_e32 v[46:47], v[0:1], v[100:101]
	v_fmac_f64_e32 v[40:41], v[2:3], v[100:101]
	v_mov_b64_e32 v[0:1], v[112:113]
	v_mov_b64_e32 v[2:3], v[114:115]
	scratch_load_dwordx4 v[112:115], off, off offset:160 ; 16-byte Folded Reload
	v_fma_f64 v[22:23], v[86:87], v[98:99], 0
	v_fma_f64 v[126:127], v[88:89], v[98:99], 0
	v_fmac_f64_e32 v[22:23], v[78:79], v[100:101]
	v_fmac_f64_e32 v[126:127], v[80:81], v[100:101]
	s_waitcnt vmcnt(2)
	v_fmac_f64_e32 v[46:47], v[122:123], v[50:51]
	v_fmac_f64_e32 v[40:41], v[124:125], v[50:51]
	s_waitcnt vmcnt(1)
	v_fmac_f64_e32 v[22:23], v[16:17], v[50:51]
	v_fmac_f64_e32 v[126:127], v[18:19], v[50:51]
	;; [unrolled: 1-line block ×4, first 2 shown]
	scratch_load_dwordx4 v[34:37], off, off ; 16-byte Folded Reload
	v_fmac_f64_e32 v[22:23], v[4:5], v[52:53]
	v_fmac_f64_e32 v[126:127], v[6:7], v[52:53]
	scratch_load_dwordx4 v[4:7], off, off offset:32 ; 16-byte Folded Reload
	v_fma_f64 v[86:87], v[72:73], v[98:99], 0
	v_fmac_f64_e32 v[86:87], v[58:59], v[100:101]
	v_fma_f64 v[20:21], v[2:3], v[98:99], 0
	scratch_load_dwordx4 v[16:19], off, off offset:480 ; 16-byte Folded Reload
	v_fma_f64 v[10:11], v[0:1], v[98:99], 0
	v_fma_f64 v[0:1], v[74:75], v[98:99], 0
	v_fmac_f64_e32 v[22:23], v[82:83], v[116:117]
	v_fmac_f64_e32 v[126:127], v[84:85], v[116:117]
	;; [unrolled: 1-line block ×3, first 2 shown]
	scratch_load_dwordx4 v[122:125], off, off offset:240 ; 16-byte Folded Reload
	scratch_load_dwordx4 v[72:75], off, off offset:80 ; 16-byte Folded Reload
	;; [unrolled: 1-line block ×3, first 2 shown]
	s_waitcnt vmcnt(6)
	v_fmac_f64_e32 v[10:11], v[112:113], v[100:101]
	v_fmac_f64_e32 v[20:21], v[114:115], v[100:101]
	s_waitcnt vmcnt(5)
	v_fmac_f64_e32 v[10:11], v[34:35], v[50:51]
	v_fmac_f64_e32 v[20:21], v[36:37], v[50:51]
	;; [unrolled: 1-line block ×3, first 2 shown]
	s_waitcnt vmcnt(4)
	v_fmac_f64_e32 v[86:87], v[4:5], v[50:51]
	scratch_load_dwordx4 v[2:5], off, off offset:448 ; 16-byte Folded Reload
	v_fmac_f64_e32 v[20:21], v[96:97], v[52:53]
	v_fmac_f64_e32 v[0:1], v[6:7], v[50:51]
	;; [unrolled: 1-line block ×4, first 2 shown]
	scratch_load_dwordx4 v[94:97], off, off offset:224 ; 16-byte Folded Reload
	scratch_load_dwordx4 v[50:53], off, off offset:304 ; 16-byte Folded Reload
	s_waitcnt vmcnt(4)
	v_fmac_f64_e32 v[86:87], v[72:73], v[116:117]
	v_fmac_f64_e32 v[0:1], v[74:75], v[116:117]
	s_waitcnt vmcnt(2)
	v_fmac_f64_e32 v[46:47], v[2:3], v[116:117]
	v_fmac_f64_e32 v[40:41], v[4:5], v[116:117]
	scratch_load_dwordx4 v[2:5], off, off offset:432 ; 16-byte Folded Reload
	v_fmac_f64_e32 v[10:11], v[16:17], v[116:117]
	v_fmac_f64_e32 v[20:21], v[18:19], v[116:117]
	s_waitcnt vmcnt(1)
	v_mov_b64_e32 v[56:57], v[52:53]
	v_mov_b64_e32 v[54:55], v[50:51]
	s_waitcnt vmcnt(0)
	v_fmac_f64_e32 v[10:11], v[2:3], v[118:119]
	v_fmac_f64_e32 v[20:21], v[4:5], v[118:119]
	scratch_load_dwordx4 v[2:5], off, off offset:16 ; 16-byte Folded Reload
	v_fmac_f64_e32 v[10:11], v[66:67], v[104:105]
	v_fmac_f64_e32 v[20:21], v[68:69], v[104:105]
	s_waitcnt vmcnt(0)
	v_fmac_f64_e32 v[22:23], v[2:3], v[118:119]
	v_fmac_f64_e32 v[126:127], v[4:5], v[118:119]
	scratch_load_dwordx4 v[2:5], off, off offset:128 ; 16-byte Folded Reload
	s_waitcnt vmcnt(0)
	v_fmac_f64_e32 v[86:87], v[2:3], v[118:119]
	v_fmac_f64_e32 v[0:1], v[4:5], v[118:119]
	scratch_load_dwordx4 v[2:5], off, off offset:48 ; 16-byte Folded Reload
	v_fmac_f64_e32 v[46:47], v[94:95], v[118:119]
	v_fmac_f64_e32 v[40:41], v[96:97], v[118:119]
	v_mov_b64_e32 v[96:97], v[18:19]
	v_mov_b64_e32 v[94:95], v[16:17]
	scratch_load_dwordx4 v[16:19], off, off offset:736 ; 16-byte Folded Reload
	scratch_load_dwordx4 v[116:119], off, off offset:64 ; 16-byte Folded Reload
	s_waitcnt vmcnt(2)
	v_fmac_f64_e32 v[46:47], v[2:3], v[104:105]
	v_fmac_f64_e32 v[40:41], v[4:5], v[104:105]
	scratch_load_dwordx4 v[2:5], off, off offset:288 ; 16-byte Folded Reload
	v_fmac_f64_e32 v[46:47], v[50:51], v[106:107]
	v_fmac_f64_e32 v[40:41], v[52:53], v[106:107]
	v_mov_b64_e32 v[50:51], v[66:67]
	v_mov_b64_e32 v[52:53], v[68:69]
	;; [unrolled: 1-line block ×4, first 2 shown]
	s_waitcnt vmcnt(0)
	v_fmac_f64_e32 v[10:11], v[2:3], v[106:107]
	v_fmac_f64_e32 v[20:21], v[4:5], v[106:107]
	scratch_load_dwordx4 v[2:5], off, off offset:96 ; 16-byte Folded Reload
	v_fmac_f64_e32 v[126:127], v[124:125], v[104:105]
	v_fmac_f64_e32 v[22:23], v[122:123], v[104:105]
	v_mov_b64_e32 v[58:59], v[122:123]
	v_mov_b64_e32 v[60:61], v[124:125]
	scratch_load_dwordx4 v[122:125], off, off offset:96 ; 16-byte Folded Reload
	s_waitcnt vmcnt(1)
	v_fmac_f64_e32 v[126:127], v[4:5], v[106:107]
	scratch_load_dwordx4 v[4:7], off, off offset:256 ; 16-byte Folded Reload
	v_fmac_f64_e32 v[22:23], v[2:3], v[106:107]
	s_waitcnt vmcnt(0)
	v_fmac_f64_e32 v[86:87], v[4:5], v[104:105]
	scratch_load_dwordx4 v[2:5], off, off offset:352 ; 16-byte Folded Reload
	v_fmac_f64_e32 v[0:1], v[6:7], v[104:105]
	s_waitcnt vmcnt(0)
	v_fmac_f64_e32 v[0:1], v[4:5], v[106:107]
	scratch_store_dwordx2 off, v[0:1], off offset:512 ; 8-byte Folded Spill
	scratch_load_dwordx2 v[0:1], off, off offset:944 ; 8-byte Folded Reload
	v_fmac_f64_e32 v[86:87], v[2:3], v[106:107]
	scratch_load_dwordx4 v[104:107], off, off offset:176 ; 16-byte Folded Reload
	s_waitcnt vmcnt(1)
	global_store_dwordx2 v[0:1], v[32:33], off
	scratch_load_dwordx2 v[0:1], off, off offset:1016 ; 8-byte Folded Reload
	s_waitcnt vmcnt(0)
	v_fma_f64 v[32:33], v[26:27], v[0:1], 0
	v_fma_f64 v[34:35], v[28:29], v[0:1], 0
	scratch_load_dwordx4 v[26:29], off, off offset:272 ; 16-byte Folded Reload
	v_fmac_f64_e32 v[32:33], v[104:105], v[30:31]
	v_fmac_f64_e32 v[34:35], v[106:107], v[30:31]
	v_fma_f64 v[98:99], v[62:63], v[0:1], 0
	v_fma_f64 v[100:101], v[64:65], v[0:1], 0
	v_fmac_f64_e32 v[98:99], v[78:79], v[30:31]
	v_fmac_f64_e32 v[100:101], v[80:81], v[30:31]
	v_fma_f64 v[102:103], v[16:17], v[0:1], 0
	v_fmac_f64_e32 v[102:103], v[66:67], v[30:31]
	s_waitcnt vmcnt(0)
	v_mov_b64_e32 v[4:5], v[26:27]
	v_fma_f64 v[36:37], v[26:27], v[0:1], 0
	v_fma_f64 v[88:89], v[28:29], v[0:1], 0
	v_mov_b64_e32 v[6:7], v[28:29]
	scratch_load_dwordx4 v[26:29], off, off offset:416 ; 16-byte Folded Reload
	v_fmac_f64_e32 v[36:37], v[112:113], v[30:31]
	v_fmac_f64_e32 v[88:89], v[114:115], v[30:31]
	v_fma_f64 v[0:1], v[18:19], v[0:1], 0
	v_fmac_f64_e32 v[0:1], v[68:69], v[30:31]
	s_waitcnt vmcnt(0)
	v_fmac_f64_e32 v[32:33], v[26:27], v[110:111]
	v_fmac_f64_e32 v[34:35], v[28:29], v[110:111]
	scratch_load_dwordx4 v[26:29], off, off ; 16-byte Folded Reload
	s_waitcnt vmcnt(0)
	v_fmac_f64_e32 v[36:37], v[26:27], v[110:111]
	v_fmac_f64_e32 v[88:89], v[28:29], v[110:111]
	scratch_load_dwordx4 v[26:29], off, off offset:336 ; 16-byte Folded Reload
	s_waitcnt vmcnt(0)
	v_fmac_f64_e32 v[98:99], v[26:27], v[110:111]
	v_fmac_f64_e32 v[100:101], v[28:29], v[110:111]
	scratch_load_dwordx4 v[26:29], off, off offset:32 ; 16-byte Folded Reload
	v_fmac_f64_e32 v[98:99], v[82:83], v[90:91]
	v_fmac_f64_e32 v[100:101], v[84:85], v[90:91]
	s_waitcnt vmcnt(0)
	v_fmac_f64_e32 v[102:103], v[26:27], v[110:111]
	v_fmac_f64_e32 v[0:1], v[28:29], v[110:111]
	scratch_load_dwordx4 v[26:29], off, off offset:192 ; 16-byte Folded Reload
	v_fmac_f64_e32 v[0:1], v[118:119], v[90:91]
	v_fmac_f64_e32 v[0:1], v[74:75], v[120:121]
	;; [unrolled: 1-line block ×4, first 2 shown]
	s_waitcnt vmcnt(0)
	v_fmac_f64_e32 v[32:33], v[26:27], v[90:91]
	v_fmac_f64_e32 v[34:35], v[28:29], v[90:91]
	scratch_load_dwordx4 v[26:29], off, off offset:144 ; 16-byte Folded Reload
	s_waitcnt vmcnt(0)
	v_fmac_f64_e32 v[36:37], v[26:27], v[90:91]
	v_fmac_f64_e32 v[88:89], v[28:29], v[90:91]
	scratch_load_dwordx4 v[26:29], off, off offset:448 ; 16-byte Folded Reload
	s_waitcnt vmcnt(0)
	v_fmac_f64_e32 v[32:33], v[26:27], v[120:121]
	v_fmac_f64_e32 v[34:35], v[28:29], v[120:121]
	v_mov_b64_e32 v[26:27], v[94:95]
	v_mov_b64_e32 v[28:29], v[96:97]
	v_fmac_f64_e32 v[36:37], v[26:27], v[120:121]
	v_fmac_f64_e32 v[88:89], v[28:29], v[120:121]
	scratch_load_dwordx4 v[26:29], off, off offset:208 ; 16-byte Folded Reload
	s_waitcnt vmcnt(0)
	v_fmac_f64_e32 v[98:99], v[26:27], v[120:121]
	v_fmac_f64_e32 v[100:101], v[28:29], v[120:121]
	scratch_load_dwordx4 v[26:29], off, off offset:224 ; 16-byte Folded Reload
	s_waitcnt vmcnt(0)
	v_fmac_f64_e32 v[32:33], v[26:27], v[42:43]
	v_fmac_f64_e32 v[34:35], v[28:29], v[42:43]
	scratch_load_dwordx4 v[26:29], off, off offset:432 ; 16-byte Folded Reload
	s_waitcnt vmcnt(0)
	v_fmac_f64_e32 v[36:37], v[26:27], v[42:43]
	v_fmac_f64_e32 v[88:89], v[28:29], v[42:43]
	scratch_load_dwordx4 v[26:29], off, off offset:16 ; 16-byte Folded Reload
	v_fmac_f64_e32 v[36:37], v[50:51], v[44:45]
	v_fmac_f64_e32 v[88:89], v[52:53], v[44:45]
	scratch_load_dwordx4 v[50:53], off, off offset:256 ; 16-byte Folded Reload
	s_waitcnt vmcnt(1)
	v_fmac_f64_e32 v[98:99], v[26:27], v[42:43]
	v_fmac_f64_e32 v[100:101], v[28:29], v[42:43]
	scratch_load_dwordx4 v[26:29], off, off offset:128 ; 16-byte Folded Reload
	v_fmac_f64_e32 v[98:99], v[58:59], v[44:45]
	v_fmac_f64_e32 v[98:99], v[122:123], v[46:47]
	scratch_store_dwordx2 off, v[98:99], off offset:768 ; 8-byte Folded Spill
	s_waitcnt vmcnt(1)
	v_fmac_f64_e32 v[0:1], v[28:29], v[42:43]
	v_mov_b64_e32 v[30:31], v[0:1]
	scratch_load_dwordx4 v[0:3], off, off offset:48 ; 16-byte Folded Reload
	v_fmac_f64_e32 v[102:103], v[26:27], v[42:43]
	v_fmac_f64_e32 v[30:31], v[52:53], v[44:45]
	v_mov_b64_e32 v[26:27], v[54:55]
	v_mov_b64_e32 v[28:29], v[56:57]
	s_waitcnt vmcnt(0)
	v_fmac_f64_e32 v[32:33], v[0:1], v[44:45]
	v_fmac_f64_e32 v[34:35], v[2:3], v[44:45]
	v_mov_b64_e32 v[0:1], v[100:101]
	v_mov_b64_e32 v[2:3], v[102:103]
	v_fmac_f64_e32 v[0:1], v[60:61], v[44:45]
	v_fmac_f64_e32 v[2:3], v[50:51], v[44:45]
	v_mov_b64_e32 v[42:43], v[50:51]
	v_mov_b64_e32 v[44:45], v[52:53]
	scratch_load_dwordx4 v[100:103], off, off offset:288 ; 16-byte Folded Reload
	scratch_load_dwordx4 v[50:53], off, off offset:352 ; 16-byte Folded Reload
	v_fmac_f64_e32 v[32:33], v[26:27], v[46:47]
	v_fmac_f64_e32 v[34:35], v[28:29], v[46:47]
	;; [unrolled: 1-line block ×3, first 2 shown]
	scratch_store_dwordx2 off, v[32:33], off offset:1072 ; 8-byte Folded Spill
	scratch_store_dwordx2 off, v[34:35], off offset:880 ; 8-byte Folded Spill
	;; [unrolled: 1-line block ×3, first 2 shown]
	v_mov_b64_e32 v[32:33], v[122:123]
	v_mov_b64_e32 v[34:35], v[124:125]
	;; [unrolled: 1-line block ×4, first 2 shown]
	s_waitcnt vmcnt(4)
	v_fmac_f64_e32 v[36:37], v[100:101], v[46:47]
	v_fmac_f64_e32 v[88:89], v[102:103], v[46:47]
	s_waitcnt vmcnt(3)
	v_fmac_f64_e32 v[2:3], v[50:51], v[46:47]
	v_fmac_f64_e32 v[30:31], v[52:53], v[46:47]
	scratch_store_dwordx2 off, v[36:37], off offset:832 ; 8-byte Folded Spill
	scratch_store_dwordx2 off, v[88:89], off offset:784 ; 8-byte Folded Spill
	;; [unrolled: 1-line block ×4, first 2 shown]
	scratch_load_dwordx4 v[0:3], off, off offset:400 ; 16-byte Folded Reload
	s_nop 0
	scratch_load_dwordx2 v[36:37], off, off offset:1008 ; 8-byte Folded Reload
	scratch_load_dwordx2 v[46:47], off, off offset:1024 ; 8-byte Folded Reload
	s_waitcnt vmcnt(2)
	v_mov_b64_e32 v[124:125], v[2:3]
	s_waitcnt vmcnt(1)
	v_fma_f64 v[30:31], v[0:1], v[36:37], 0
	s_waitcnt vmcnt(0)
	v_fmac_f64_e32 v[30:31], v[104:105], v[46:47]
	v_mov_b64_e32 v[72:73], v[30:31]
	v_fma_f64 v[30:31], v[2:3], v[36:37], 0
	v_mov_b64_e32 v[74:75], v[36:37]
	v_mov_b64_e32 v[122:123], v[0:1]
	v_fmac_f64_e32 v[30:31], v[106:107], v[46:47]
	v_mov_b64_e32 v[2:3], v[46:47]
	v_fma_f64 v[0:1], v[4:5], v[74:75], 0
	v_fma_f64 v[46:47], v[6:7], v[74:75], 0
	v_mov_b64_e32 v[4:5], v[62:63]
	v_mov_b64_e32 v[6:7], v[64:65]
	v_fmac_f64_e32 v[0:1], v[112:113], v[2:3]
	v_fma_f64 v[64:65], v[4:5], v[74:75], 0
	v_fma_f64 v[88:89], v[6:7], v[74:75], 0
	;; [unrolled: 1-line block ×4, first 2 shown]
	v_mov_b64_e32 v[36:37], v[0:1]
	v_fmac_f64_e32 v[46:47], v[114:115], v[2:3]
	v_fmac_f64_e32 v[64:65], v[78:79], v[2:3]
	;; [unrolled: 1-line block ×5, first 2 shown]
	scratch_load_dwordx4 v[0:3], off, off offset:416 ; 16-byte Folded Reload
	scratch_load_dwordx2 v[4:5], off, off offset:1032 ; 8-byte Folded Reload
	v_mov_b64_e32 v[62:63], v[72:73]
	v_mov_b64_e32 v[80:81], v[68:69]
	;; [unrolled: 1-line block ×3, first 2 shown]
	scratch_load_dwordx4 v[66:69], off, off offset:128 ; 16-byte Folded Reload
	v_mov_b64_e32 v[114:115], v[84:85]
	v_mov_b64_e32 v[112:113], v[82:83]
	;; [unrolled: 1-line block ×4, first 2 shown]
	scratch_load_dwordx4 v[72:75], off, off offset:192 ; 16-byte Folded Reload
	s_waitcnt vmcnt(2)
	v_fmac_f64_e32 v[62:63], v[0:1], v[4:5]
	v_fmac_f64_e32 v[30:31], v[2:3], v[4:5]
	scratch_load_dwordx4 v[0:3], off, off   ; 16-byte Folded Reload
	s_waitcnt vmcnt(1)
	v_mov_b64_e32 v[54:55], v[72:73]
	v_fmac_f64_e32 v[62:63], v[72:73], v[12:13]
	v_fmac_f64_e32 v[30:31], v[74:75], v[12:13]
	v_mov_b64_e32 v[56:57], v[74:75]
	v_mov_b64_e32 v[72:73], v[116:117]
	;; [unrolled: 1-line block ×5, first 2 shown]
	s_waitcnt vmcnt(0)
	v_fmac_f64_e32 v[36:37], v[0:1], v[4:5]
	v_fmac_f64_e32 v[46:47], v[2:3], v[4:5]
	scratch_load_dwordx4 v[0:3], off, off offset:336 ; 16-byte Folded Reload
	s_waitcnt vmcnt(0)
	v_fmac_f64_e32 v[64:65], v[0:1], v[4:5]
	v_fmac_f64_e32 v[88:89], v[2:3], v[4:5]
	scratch_load_dwordx4 v[0:3], off, off offset:32 ; 16-byte Folded Reload
	;; [unrolled: 4-line block ×3, first 2 shown]
	v_fmac_f64_e32 v[98:99], v[72:73], v[12:13]
	v_fmac_f64_e32 v[120:121], v[74:75], v[12:13]
	s_waitcnt vmcnt(0)
	v_fmac_f64_e32 v[36:37], v[0:1], v[12:13]
	v_fmac_f64_e32 v[46:47], v[2:3], v[12:13]
	v_mov_b64_e32 v[0:1], v[82:83]
	v_mov_b64_e32 v[2:3], v[84:85]
	v_fmac_f64_e32 v[64:65], v[0:1], v[12:13]
	v_fmac_f64_e32 v[88:89], v[2:3], v[12:13]
	scratch_load_dwordx4 v[0:3], off, off offset:480 ; 16-byte Folded Reload
	scratch_load_dwordx4 v[82:85], off, off offset:448 ; 16-byte Folded Reload
	scratch_load_dwordx2 v[12:13], off, off offset:1152 ; 8-byte Folded Reload
	s_waitcnt vmcnt(2)
	v_fmac_f64_e32 v[36:37], v[0:1], v[70:71]
	v_fmac_f64_e32 v[46:47], v[2:3], v[70:71]
	scratch_load_dwordx4 v[0:3], off, off offset:208 ; 16-byte Folded Reload
	s_waitcnt vmcnt(0)
	v_fmac_f64_e32 v[64:65], v[0:1], v[70:71]
	v_fmac_f64_e32 v[88:89], v[2:3], v[70:71]
	scratch_load_dwordx4 v[0:3], off, off offset:80 ; 16-byte Folded Reload
	v_fmac_f64_e32 v[62:63], v[82:83], v[70:71]
	v_fmac_f64_e32 v[30:31], v[84:85], v[70:71]
	s_waitcnt vmcnt(0)
	v_fmac_f64_e32 v[98:99], v[0:1], v[70:71]
	v_fmac_f64_e32 v[120:121], v[2:3], v[70:71]
	scratch_load_dwordx4 v[0:3], off, off offset:224 ; 16-byte Folded Reload
	v_fmac_f64_e32 v[98:99], v[66:67], v[92:93]
	v_fmac_f64_e32 v[120:121], v[68:69], v[92:93]
	;; [unrolled: 1-line block ×6, first 2 shown]
	v_mov_b64_e32 v[44:45], v[34:35]
	scratch_store_dwordx2 off, v[98:99], off offset:896 ; 8-byte Folded Spill
	scratch_store_dwordx2 off, v[120:121], off offset:1008 ; 8-byte Folded Spill
	v_mov_b64_e32 v[42:43], v[32:33]
	s_waitcnt vmcnt(2)
	v_fmac_f64_e32 v[62:63], v[0:1], v[92:93]
	v_fmac_f64_e32 v[30:31], v[2:3], v[92:93]
	scratch_load_dwordx4 v[0:3], off, off offset:432 ; 16-byte Folded Reload
	s_waitcnt vmcnt(0)
	v_fmac_f64_e32 v[36:37], v[0:1], v[92:93]
	v_fmac_f64_e32 v[46:47], v[2:3], v[92:93]
	scratch_load_dwordx4 v[0:3], off, off offset:16 ; 16-byte Folded Reload
	s_waitcnt vmcnt(0)
	v_mov_b64_e32 v[96:97], v[2:3]
	v_fmac_f64_e32 v[64:65], v[0:1], v[92:93]
	v_fmac_f64_e32 v[88:89], v[2:3], v[92:93]
	v_mov_b64_e32 v[94:95], v[0:1]
	scratch_load_dwordx4 v[0:3], off, off offset:48 ; 16-byte Folded Reload
	v_fmac_f64_e32 v[64:65], v[58:59], v[38:39]
	v_fmac_f64_e32 v[88:89], v[60:61], v[38:39]
	;; [unrolled: 1-line block ×4, first 2 shown]
	scratch_store_dwordx2 off, v[64:65], off offset:1024 ; 8-byte Folded Spill
	scratch_store_dwordx2 off, v[88:89], off offset:1016 ; 8-byte Folded Spill
	v_mov_b64_e32 v[58:59], v[122:123]
	v_fma_f64 v[6:7], v[58:59], v[12:13], 0
	v_mov_b64_e32 v[60:61], v[124:125]
	s_waitcnt vmcnt(2)
	v_fmac_f64_e32 v[62:63], v[0:1], v[38:39]
	v_fmac_f64_e32 v[30:31], v[2:3], v[38:39]
	scratch_load_dwordx4 v[0:3], off, off offset:112 ; 16-byte Folded Reload
	s_waitcnt vmcnt(0)
	v_fmac_f64_e32 v[36:37], v[0:1], v[38:39]
	v_fmac_f64_e32 v[46:47], v[2:3], v[38:39]
	scratch_load_dwordx4 v[0:3], off, off offset:304 ; 16-byte Folded Reload
	v_fmac_f64_e32 v[36:37], v[100:101], v[40:41]
	v_fmac_f64_e32 v[46:47], v[102:103], v[40:41]
	scratch_store_dwordx2 off, v[36:37], off offset:1040 ; 8-byte Folded Spill
	scratch_store_dwordx2 off, v[46:47], off offset:1032 ; 8-byte Folded Spill
	s_waitcnt vmcnt(2)
	v_fmac_f64_e32 v[62:63], v[0:1], v[40:41]
	v_fmac_f64_e32 v[30:31], v[2:3], v[40:41]
	scratch_store_dwordx2 off, v[62:63], off offset:1168 ; 8-byte Folded Spill
	scratch_store_dwordx2 off, v[30:31], off offset:1064 ; 8-byte Folded Spill
	scratch_load_dwordx4 v[88:91], off, off offset:176 ; 16-byte Folded Reload
	scratch_load_dwordx2 v[34:35], off, off offset:1160 ; 8-byte Folded Reload
	scratch_load_dwordx4 v[16:19], off, off offset:272 ; 16-byte Folded Reload
	v_mov_b64_e32 v[40:41], v[12:13]
	scratch_load_dwordx4 v[30:33], off, off offset:160 ; 16-byte Folded Reload
	scratch_load_dwordx4 v[122:125], off, off offset:464 ; 16-byte Folded Reload
	s_waitcnt vmcnt(3)
	v_fmac_f64_e32 v[6:7], v[88:89], v[34:35]
	v_mov_b64_e32 v[62:63], v[6:7]
	v_fma_f64 v[6:7], v[60:61], v[12:13], 0
	v_mov_b64_e32 v[46:47], v[34:35]
	s_waitcnt vmcnt(2)
	v_fma_f64 v[18:19], v[18:19], v[40:41], 0
	v_fmac_f64_e32 v[6:7], v[90:91], v[34:35]
	s_waitcnt vmcnt(1)
	v_fmac_f64_e32 v[18:19], v[32:33], v[46:47]
	scratch_load_dwordx4 v[32:35], off, off offset:368 ; 16-byte Folded Reload
	v_fma_f64 v[12:13], v[16:17], v[40:41], 0
	v_fmac_f64_e32 v[12:13], v[30:31], v[46:47]
	s_waitcnt vmcnt(0)
	v_fma_f64 v[70:71], v[34:35], v[40:41], 0
	v_mov_b64_e32 v[36:37], v[28:29]
	v_mov_b64_e32 v[34:35], v[26:27]
	scratch_load_dwordx4 v[26:29], off, off offset:416 ; 16-byte Folded Reload
	scratch_load_dwordx2 v[16:17], off, off offset:1192 ; 8-byte Folded Reload
	scratch_load_dwordx2 v[4:5], off, off offset:1224 ; 8-byte Folded Reload
	v_fma_f64 v[120:121], v[32:33], v[40:41], 0
	v_fmac_f64_e32 v[120:121], v[122:123], v[46:47]
	v_fmac_f64_e32 v[70:71], v[124:125], v[46:47]
	v_fma_f64 v[38:39], v[34:35], v[40:41], 0
	v_fma_f64 v[32:33], v[36:37], v[40:41], 0
	v_fmac_f64_e32 v[38:39], v[78:79], v[46:47]
	v_fmac_f64_e32 v[32:33], v[80:81], v[46:47]
	s_waitcnt vmcnt(1)
	v_fmac_f64_e32 v[62:63], v[26:27], v[16:17]
	v_fmac_f64_e32 v[6:7], v[28:29], v[16:17]
	scratch_load_dwordx4 v[26:29], off, off ; 16-byte Folded Reload
	s_waitcnt vmcnt(0)
	v_fmac_f64_e32 v[12:13], v[26:27], v[16:17]
	v_fmac_f64_e32 v[18:19], v[28:29], v[16:17]
	scratch_load_dwordx4 v[26:29], off, off offset:336 ; 16-byte Folded Reload
	s_waitcnt vmcnt(0)
	v_fmac_f64_e32 v[120:121], v[26:27], v[16:17]
	v_fmac_f64_e32 v[70:71], v[28:29], v[16:17]
	scratch_load_dwordx4 v[26:29], off, off offset:32 ; 16-byte Folded Reload
	v_fmac_f64_e32 v[120:121], v[112:113], v[4:5]
	v_fmac_f64_e32 v[70:71], v[114:115], v[4:5]
	s_waitcnt vmcnt(0)
	v_fmac_f64_e32 v[38:39], v[26:27], v[16:17]
	v_fmac_f64_e32 v[32:33], v[28:29], v[16:17]
	v_mov_b64_e32 v[26:27], v[54:55]
	v_mov_b64_e32 v[28:29], v[56:57]
	v_fmac_f64_e32 v[62:63], v[26:27], v[4:5]
	v_fmac_f64_e32 v[6:7], v[28:29], v[4:5]
	scratch_load_dwordx4 v[26:29], off, off offset:144 ; 16-byte Folded Reload
	v_fmac_f64_e32 v[38:39], v[72:73], v[4:5]
	v_fmac_f64_e32 v[32:33], v[74:75], v[4:5]
	scratch_load_dwordx4 v[72:75], off, off offset:224 ; 16-byte Folded Reload
	v_fmac_f64_e32 v[62:63], v[82:83], v[108:109]
	v_fmac_f64_e32 v[6:7], v[84:85], v[108:109]
	v_mov_b64_e32 v[84:85], v[36:37]
	v_mov_b64_e32 v[82:83], v[34:35]
	;; [unrolled: 1-line block ×4, first 2 shown]
	s_waitcnt vmcnt(1)
	v_fmac_f64_e32 v[18:19], v[28:29], v[4:5]
	v_fmac_f64_e32 v[12:13], v[26:27], v[4:5]
	scratch_load_dwordx4 v[26:29], off, off offset:480 ; 16-byte Folded Reload
	v_mov_b64_e32 v[4:5], v[18:19]
	scratch_load_dwordx4 v[16:19], off, off offset:208 ; 16-byte Folded Reload
	s_waitcnt vmcnt(2)
	v_fmac_f64_e32 v[62:63], v[72:73], v[8:9]
	v_fmac_f64_e32 v[6:7], v[74:75], v[8:9]
	s_waitcnt vmcnt(1)
	v_fmac_f64_e32 v[12:13], v[26:27], v[108:109]
	v_fmac_f64_e32 v[4:5], v[28:29], v[108:109]
	;; [unrolled: 3-line block ×3, first 2 shown]
	scratch_load_dwordx4 v[16:19], off, off offset:432 ; 16-byte Folded Reload
	scratch_load_dwordx4 v[26:29], off, off offset:80 ; 16-byte Folded Reload
	v_fmac_f64_e32 v[70:71], v[96:97], v[8:9]
	v_mov_b64_e32 v[98:99], v[96:97]
	v_fmac_f64_e32 v[120:121], v[94:95], v[8:9]
	v_mov_b64_e32 v[96:97], v[94:95]
	v_mov_b64_e32 v[94:95], v[90:91]
	;; [unrolled: 1-line block ×3, first 2 shown]
	v_fmac_f64_e32 v[120:121], v[104:105], v[76:77]
	v_fmac_f64_e32 v[70:71], v[106:107], v[76:77]
	;; [unrolled: 1-line block ×4, first 2 shown]
	v_mov_b64_e32 v[46:47], v[44:45]
	v_mov_b64_e32 v[44:45], v[42:43]
	s_waitcnt vmcnt(1)
	v_fmac_f64_e32 v[12:13], v[16:17], v[8:9]
	v_fmac_f64_e32 v[4:5], v[18:19], v[8:9]
	scratch_load_dwordx4 v[16:19], off, off offset:48 ; 16-byte Folded Reload
	s_waitcnt vmcnt(1)
	v_fmac_f64_e32 v[38:39], v[26:27], v[108:109]
	v_fmac_f64_e32 v[38:39], v[66:67], v[8:9]
	v_mov_b64_e32 v[66:67], v[2:3]
	v_mov_b64_e32 v[64:65], v[0:1]
	v_fmac_f64_e32 v[32:33], v[28:29], v[108:109]
	v_fmac_f64_e32 v[32:33], v[68:69], v[8:9]
	;; [unrolled: 1-line block ×6, first 2 shown]
	v_mov_b64_e32 v[112:113], v[28:29]
	v_mov_b64_e32 v[110:111], v[26:27]
	s_waitcnt vmcnt(0)
	v_fmac_f64_e32 v[62:63], v[16:17], v[76:77]
	v_fmac_f64_e32 v[6:7], v[18:19], v[76:77]
	scratch_load_dwordx4 v[16:19], off, off offset:112 ; 16-byte Folded Reload
	v_fmac_f64_e32 v[62:63], v[0:1], v[10:11]
	scratch_load_dwordx2 v[0:1], off, off offset:1056 ; 8-byte Folded Reload
	v_fmac_f64_e32 v[6:7], v[2:3], v[10:11]
	scratch_store_dwordx2 off, v[62:63], off offset:1192 ; 8-byte Folded Spill
	scratch_store_dwordx2 off, v[6:7], off offset:1160 ; 8-byte Folded Spill
	s_waitcnt vmcnt(3)
	v_fmac_f64_e32 v[4:5], v[18:19], v[76:77]
	v_fmac_f64_e32 v[4:5], v[102:103], v[10:11]
	scratch_store_dwordx2 off, v[4:5], off offset:1224 ; 8-byte Folded Spill
	scratch_load_dwordx2 v[4:5], off, off offset:1144 ; 8-byte Folded Reload
	s_waitcnt vmcnt(4)
	v_fma_f64 v[30:31], v[58:59], v[0:1], 0
	v_fma_f64 v[62:63], v[60:61], v[0:1], 0
	v_fmac_f64_e32 v[12:13], v[16:17], v[76:77]
	v_fmac_f64_e32 v[12:13], v[100:101], v[10:11]
	scratch_store_dwordx2 off, v[12:13], off offset:1152 ; 8-byte Folded Spill
	v_fma_f64 v[28:29], v[82:83], v[0:1], 0
	v_fma_f64 v[12:13], v[84:85], v[0:1], 0
	s_waitcnt vmcnt(1)
	v_fmac_f64_e32 v[30:31], v[92:93], v[4:5]
	v_fmac_f64_e32 v[62:63], v[94:95], v[4:5]
	v_mov_b64_e32 v[16:17], v[4:5]
	scratch_load_dwordx4 v[4:7], off, off offset:272 ; 16-byte Folded Reload
	v_fmac_f64_e32 v[28:29], v[78:79], v[16:17]
	v_fmac_f64_e32 v[12:13], v[80:81], v[16:17]
	s_waitcnt vmcnt(0)
	v_fma_f64 v[10:11], v[4:5], v[0:1], 0
	scratch_load_dwordx4 v[2:5], off, off offset:160 ; 16-byte Folded Reload
	v_fma_f64 v[8:9], v[6:7], v[0:1], 0
	s_waitcnt vmcnt(0)
	v_fmac_f64_e32 v[10:11], v[2:3], v[16:17]
	v_fmac_f64_e32 v[8:9], v[4:5], v[16:17]
	scratch_load_dwordx4 v[2:5], off, off offset:368 ; 16-byte Folded Reload
	s_waitcnt vmcnt(0)
	v_fma_f64 v[6:7], v[2:3], v[0:1], 0
	v_fma_f64 v[4:5], v[4:5], v[0:1], 0
	v_fmac_f64_e32 v[6:7], v[122:123], v[16:17]
	v_fmac_f64_e32 v[4:5], v[124:125], v[16:17]
	scratch_load_dwordx2 v[16:17], off, off offset:1184 ; 8-byte Folded Reload
	scratch_load_dwordx4 v[40:43], off, off offset:416 ; 16-byte Folded Reload
	scratch_load_dwordx4 v[0:3], off, off   ; 16-byte Folded Reload
	s_waitcnt vmcnt(1)
	v_fmac_f64_e32 v[30:31], v[40:41], v[16:17]
	s_waitcnt vmcnt(0)
	v_fmac_f64_e32 v[10:11], v[0:1], v[16:17]
	v_fmac_f64_e32 v[8:9], v[2:3], v[16:17]
	scratch_load_dwordx4 v[0:3], off, off offset:336 ; 16-byte Folded Reload
	v_fmac_f64_e32 v[62:63], v[42:43], v[16:17]
	v_mov_b64_e32 v[80:81], v[42:43]
	v_mov_b64_e32 v[78:79], v[40:41]
	s_waitcnt vmcnt(0)
	v_fmac_f64_e32 v[6:7], v[0:1], v[16:17]
	v_fmac_f64_e32 v[4:5], v[2:3], v[16:17]
	scratch_load_dwordx4 v[0:3], off, off offset:32 ; 16-byte Folded Reload
	s_waitcnt vmcnt(0)
	v_fmac_f64_e32 v[28:29], v[0:1], v[16:17]
	v_fmac_f64_e32 v[12:13], v[2:3], v[16:17]
	scratch_load_dwordx2 v[16:17], off, off offset:1208 ; 8-byte Folded Reload
	scratch_load_dwordx4 v[0:3], off, off offset:144 ; 16-byte Folded Reload
	s_waitcnt vmcnt(1)
	v_fmac_f64_e32 v[30:31], v[34:35], v[16:17]
	s_waitcnt vmcnt(0)
	v_fmac_f64_e32 v[10:11], v[0:1], v[16:17]
	v_fmac_f64_e32 v[8:9], v[2:3], v[16:17]
	scratch_load_dwordx4 v[0:3], off, off offset:384 ; 16-byte Folded Reload
	v_fmac_f64_e32 v[62:63], v[36:37], v[16:17]
	s_waitcnt vmcnt(0)
	v_fmac_f64_e32 v[6:7], v[0:1], v[16:17]
	v_fmac_f64_e32 v[4:5], v[2:3], v[16:17]
	scratch_load_dwordx4 v[0:3], off, off offset:64 ; 16-byte Folded Reload
	s_waitcnt vmcnt(0)
	v_fmac_f64_e32 v[28:29], v[0:1], v[16:17]
	v_fmac_f64_e32 v[12:13], v[2:3], v[16:17]
	scratch_load_dwordx4 v[88:91], off, off offset:448 ; 16-byte Folded Reload
	scratch_load_dwordx2 v[16:17], off, off offset:1216 ; 8-byte Folded Reload
	scratch_load_dwordx4 v[34:37], off, off offset:480 ; 16-byte Folded Reload
	scratch_load_dwordx4 v[40:43], off, off offset:464 ; 16-byte Folded Reload
	;; [unrolled: 1-line block ×3, first 2 shown]
	s_waitcnt vmcnt(4)
	v_mov_b64_e32 v[0:1], v[88:89]
	s_waitcnt vmcnt(3)
	v_fmac_f64_e32 v[30:31], v[88:89], v[16:17]
	s_waitcnt vmcnt(2)
	v_fmac_f64_e32 v[10:11], v[34:35], v[16:17]
	v_fmac_f64_e32 v[8:9], v[36:37], v[16:17]
	scratch_load_dwordx4 v[34:37], off, off offset:208 ; 16-byte Folded Reload
	v_fmac_f64_e32 v[62:63], v[90:91], v[16:17]
	v_fmac_f64_e32 v[28:29], v[110:111], v[16:17]
	;; [unrolled: 1-line block ×3, first 2 shown]
	scratch_load_dwordx4 v[108:111], off, off offset:128 ; 16-byte Folded Reload
	v_fmac_f64_e32 v[30:31], v[72:73], v[24:25]
	v_fmac_f64_e32 v[62:63], v[74:75], v[24:25]
	v_mov_b64_e32 v[2:3], v[90:91]
	s_waitcnt vmcnt(1)
	v_fmac_f64_e32 v[6:7], v[34:35], v[16:17]
	v_fmac_f64_e32 v[4:5], v[36:37], v[16:17]
	scratch_load_dwordx4 v[16:19], off, off offset:432 ; 16-byte Folded Reload
	scratch_load_dwordx4 v[34:37], off, off offset:272 ; 16-byte Folded Reload
	v_fmac_f64_e32 v[6:7], v[96:97], v[24:25]
	v_fmac_f64_e32 v[4:5], v[98:99], v[24:25]
	;; [unrolled: 1-line block ×6, first 2 shown]
	v_mov_b64_e32 v[96:97], v[116:117]
	v_mov_b64_e32 v[98:99], v[118:119]
	s_waitcnt vmcnt(1)
	v_fmac_f64_e32 v[10:11], v[16:17], v[24:25]
	v_fmac_f64_e32 v[8:9], v[18:19], v[24:25]
	scratch_load_dwordx4 v[16:19], off, off offset:48 ; 16-byte Folded Reload
	v_fmac_f64_e32 v[28:29], v[108:109], v[24:25]
	v_fmac_f64_e32 v[12:13], v[110:111], v[24:25]
	scratch_load_dwordx4 v[24:27], off, off offset:160 ; 16-byte Folded Reload
	v_fmac_f64_e32 v[28:29], v[116:117], v[14:15]
	v_fmac_f64_e32 v[12:13], v[118:119], v[14:15]
	;; [unrolled: 1-line block ×4, first 2 shown]
	v_mov_b64_e32 v[88:89], v[108:109]
	v_mov_b64_e32 v[90:91], v[110:111]
	s_waitcnt vmcnt(1)
	v_fmac_f64_e32 v[30:31], v[16:17], v[14:15]
	v_fmac_f64_e32 v[62:63], v[18:19], v[14:15]
	scratch_load_dwordx4 v[16:19], off, off offset:112 ; 16-byte Folded Reload
	s_waitcnt vmcnt(0)
	v_mov_b64_e32 v[74:75], v[18:19]
	v_fmac_f64_e32 v[10:11], v[16:17], v[14:15]
	v_fmac_f64_e32 v[8:9], v[18:19], v[14:15]
	v_mov_b64_e32 v[72:73], v[16:17]
	v_mov_b64_e32 v[14:15], v[64:65]
	;; [unrolled: 1-line block ×3, first 2 shown]
	v_fmac_f64_e32 v[30:31], v[14:15], v[20:21]
	scratch_load_dwordx2 v[14:15], off, off offset:984 ; 8-byte Folded Reload
	v_fmac_f64_e32 v[62:63], v[16:17], v[20:21]
	v_fmac_f64_e32 v[10:11], v[100:101], v[20:21]
	;; [unrolled: 1-line block ×3, first 2 shown]
	scratch_load_dwordx2 v[20:21], off, off offset:1000 ; 8-byte Folded Reload
	v_mov_b64_e32 v[64:65], v[92:93]
	v_mov_b64_e32 v[66:67], v[94:95]
	s_waitcnt vmcnt(1)
	v_fma_f64 v[34:35], v[34:35], v[14:15], 0
	v_fma_f64 v[36:37], v[36:37], v[14:15], 0
	;; [unrolled: 1-line block ×4, first 2 shown]
	s_waitcnt vmcnt(0)
	v_fmac_f64_e32 v[34:35], v[24:25], v[20:21]
	v_fmac_f64_e32 v[36:37], v[26:27], v[20:21]
	scratch_load_dwordx4 v[24:27], off, off offset:320 ; 16-byte Folded Reload
	v_fma_f64 v[16:17], v[58:59], v[14:15], 0
	v_fma_f64 v[18:19], v[60:61], v[14:15], 0
	v_fmac_f64_e32 v[16:17], v[92:93], v[20:21]
	v_fmac_f64_e32 v[18:19], v[94:95], v[20:21]
	s_waitcnt vmcnt(0)
	v_fmac_f64_e32 v[76:77], v[24:25], v[20:21]
	v_fmac_f64_e32 v[118:119], v[26:27], v[20:21]
	scratch_load_dwordx4 v[24:27], off, off ; 16-byte Folded Reload
	v_fma_f64 v[104:105], v[122:123], v[14:15], 0
	v_fma_f64 v[114:115], v[124:125], v[14:15], 0
	scratch_load_dwordx2 v[14:15], off, off offset:992 ; 8-byte Folded Reload
	v_fmac_f64_e32 v[104:105], v[40:41], v[20:21]
	v_fmac_f64_e32 v[114:115], v[42:43], v[20:21]
	s_waitcnt vmcnt(0)
	v_fmac_f64_e32 v[34:35], v[24:25], v[14:15]
	v_fmac_f64_e32 v[36:37], v[26:27], v[14:15]
	scratch_load_dwordx4 v[24:27], off, off offset:336 ; 16-byte Folded Reload
	v_fmac_f64_e32 v[16:17], v[78:79], v[14:15]
	v_fmac_f64_e32 v[18:19], v[80:81], v[14:15]
	s_waitcnt vmcnt(0)
	v_fmac_f64_e32 v[104:105], v[24:25], v[14:15]
	v_fmac_f64_e32 v[114:115], v[26:27], v[14:15]
	scratch_load_dwordx4 v[24:27], off, off offset:32 ; 16-byte Folded Reload
	s_waitcnt vmcnt(0)
	v_fmac_f64_e32 v[76:77], v[24:25], v[14:15]
	v_fmac_f64_e32 v[118:119], v[26:27], v[14:15]
	scratch_load_dwordx2 v[14:15], off, off offset:928 ; 8-byte Folded Reload
	v_mov_b64_e32 v[24:25], v[54:55]
	v_mov_b64_e32 v[26:27], v[56:57]
	s_waitcnt vmcnt(0)
	v_fmac_f64_e32 v[16:17], v[24:25], v[14:15]
	v_fmac_f64_e32 v[18:19], v[26:27], v[14:15]
	scratch_load_dwordx4 v[24:27], off, off offset:144 ; 16-byte Folded Reload
	s_waitcnt vmcnt(0)
	v_fmac_f64_e32 v[34:35], v[24:25], v[14:15]
	v_fmac_f64_e32 v[36:37], v[26:27], v[14:15]
	scratch_load_dwordx4 v[24:27], off, off offset:384 ; 16-byte Folded Reload
	;; [unrolled: 4-line block ×3, first 2 shown]
	s_waitcnt vmcnt(0)
	v_fmac_f64_e32 v[76:77], v[24:25], v[14:15]
	v_fmac_f64_e32 v[118:119], v[26:27], v[14:15]
	scratch_load_dwordx2 v[14:15], off, off offset:1048 ; 8-byte Folded Reload
	s_waitcnt vmcnt(0)
	v_fmac_f64_e32 v[16:17], v[0:1], v[14:15]
	v_fmac_f64_e32 v[18:19], v[2:3], v[14:15]
	scratch_load_dwordx4 v[0:3], off, off offset:480 ; 16-byte Folded Reload
	s_waitcnt vmcnt(0)
	v_fmac_f64_e32 v[34:35], v[0:1], v[14:15]
	v_fmac_f64_e32 v[36:37], v[2:3], v[14:15]
	scratch_load_dwordx4 v[0:3], off, off offset:208 ; 16-byte Folded Reload
	;; [unrolled: 4-line block ×4, first 2 shown]
	scratch_load_dwordx2 v[14:15], off, off offset:1240 ; 8-byte Folded Reload
	scratch_load_dwordx4 v[24:27], off, off offset:432 ; 16-byte Folded Reload
	s_waitcnt vmcnt(1)
	v_fmac_f64_e32 v[16:17], v[0:1], v[14:15]
	v_fmac_f64_e32 v[18:19], v[2:3], v[14:15]
	scratch_load_dwordx4 v[0:3], off, off offset:16 ; 16-byte Folded Reload
	s_waitcnt vmcnt(1)
	v_mov_b64_e32 v[56:57], v[26:27]
	v_fmac_f64_e32 v[34:35], v[24:25], v[14:15]
	v_fmac_f64_e32 v[36:37], v[26:27], v[14:15]
	v_mov_b64_e32 v[54:55], v[24:25]
	scratch_load_dwordx4 v[24:27], off, off offset:240 ; 16-byte Folded Reload
	v_fmac_f64_e32 v[34:35], v[72:73], v[48:49]
	v_fmac_f64_e32 v[36:37], v[74:75], v[48:49]
	scratch_load_dwordx4 v[72:75], off, off offset:272 ; 16-byte Folded Reload
	v_fmac_f64_e32 v[76:77], v[88:89], v[14:15]
	v_fmac_f64_e32 v[118:119], v[90:91], v[14:15]
	;; [unrolled: 1-line block ×8, first 2 shown]
	s_waitcnt vmcnt(2)
	v_fmac_f64_e32 v[104:105], v[0:1], v[14:15]
	v_fmac_f64_e32 v[114:115], v[2:3], v[14:15]
	scratch_load_dwordx4 v[0:3], off, off offset:48 ; 16-byte Folded Reload
	scratch_load_dwordx2 v[14:15], off, off offset:976 ; 8-byte Folded Reload
	s_waitcnt vmcnt(3)
	v_fmac_f64_e32 v[104:105], v[24:25], v[48:49]
	v_fmac_f64_e32 v[114:115], v[26:27], v[48:49]
	;; [unrolled: 1-line block ×4, first 2 shown]
	s_waitcnt vmcnt(1)
	v_fmac_f64_e32 v[16:17], v[0:1], v[48:49]
	v_fmac_f64_e32 v[18:19], v[2:3], v[48:49]
	v_mov_b64_e32 v[0:1], v[24:25]
	v_mov_b64_e32 v[2:3], v[26:27]
	scratch_load_dwordx4 v[24:27], off, off offset:304 ; 16-byte Folded Reload
	s_waitcnt vmcnt(1)
	v_fma_f64 v[20:21], v[58:59], v[14:15], 0
	v_fma_f64 v[106:107], v[72:73], v[14:15], 0
	;; [unrolled: 1-line block ×3, first 2 shown]
	v_mov_b64_e32 v[74:75], v[42:43]
	v_mov_b64_e32 v[72:73], v[40:41]
	scratch_load_dwordx4 v[40:43], off, off offset:320 ; 16-byte Folded Reload
	v_fma_f64 v[88:89], v[122:123], v[14:15], 0
	v_fma_f64 v[96:97], v[124:125], v[14:15], 0
	;; [unrolled: 1-line block ×4, first 2 shown]
	s_waitcnt vmcnt(1)
	v_fmac_f64_e32 v[16:17], v[24:25], v[22:23]
	v_fmac_f64_e32 v[18:19], v[26:27], v[22:23]
	scratch_load_dwordx2 v[22:23], off, off offset:960 ; 8-byte Folded Reload
	v_fma_f64 v[26:27], v[60:61], v[14:15], 0
	scratch_load_dwordx2 v[14:15], off, off offset:816 ; 8-byte Folded Reload
	s_waitcnt vmcnt(1)
	v_fmac_f64_e32 v[20:21], v[92:93], v[22:23]
	scratch_load_dwordx4 v[90:93], off, off offset:160 ; 16-byte Folded Reload
	v_fmac_f64_e32 v[26:27], v[94:95], v[22:23]
	v_fmac_f64_e32 v[88:89], v[72:73], v[22:23]
	;; [unrolled: 1-line block ×5, first 2 shown]
	s_waitcnt vmcnt(0)
	v_fmac_f64_e32 v[106:107], v[90:91], v[22:23]
	v_fmac_f64_e32 v[112:113], v[92:93], v[22:23]
	scratch_load_dwordx4 v[22:25], off, off ; 16-byte Folded Reload
	v_fmac_f64_e32 v[20:21], v[78:79], v[14:15]
	v_fmac_f64_e32 v[26:27], v[80:81], v[14:15]
	v_mov_b64_e32 v[80:81], v[74:75]
	v_mov_b64_e32 v[78:79], v[72:73]
	s_waitcnt vmcnt(0)
	v_fmac_f64_e32 v[106:107], v[22:23], v[14:15]
	v_fmac_f64_e32 v[112:113], v[24:25], v[14:15]
	scratch_load_dwordx4 v[22:25], off, off offset:336 ; 16-byte Folded Reload
	s_waitcnt vmcnt(0)
	v_fmac_f64_e32 v[88:89], v[22:23], v[14:15]
	v_fmac_f64_e32 v[96:97], v[24:25], v[14:15]
	scratch_load_dwordx4 v[22:25], off, off offset:32 ; 16-byte Folded Reload
	s_waitcnt vmcnt(0)
	v_fmac_f64_e32 v[98:99], v[22:23], v[14:15]
	v_fmac_f64_e32 v[100:101], v[24:25], v[14:15]
	scratch_load_dwordx2 v[14:15], off, off offset:864 ; 8-byte Folded Reload
	scratch_load_dwordx4 v[22:25], off, off offset:192 ; 16-byte Folded Reload
	s_waitcnt vmcnt(0)
	v_fmac_f64_e32 v[20:21], v[22:23], v[14:15]
	v_fmac_f64_e32 v[26:27], v[24:25], v[14:15]
	scratch_load_dwordx4 v[22:25], off, off offset:144 ; 16-byte Folded Reload
	s_waitcnt vmcnt(0)
	v_fmac_f64_e32 v[106:107], v[22:23], v[14:15]
	v_fmac_f64_e32 v[112:113], v[24:25], v[14:15]
	;; [unrolled: 4-line block ×4, first 2 shown]
	scratch_load_dwordx2 v[14:15], off, off offset:912 ; 8-byte Folded Reload
	scratch_load_dwordx4 v[22:25], off, off offset:448 ; 16-byte Folded Reload
	s_waitcnt vmcnt(0)
	v_fmac_f64_e32 v[20:21], v[22:23], v[14:15]
	v_fmac_f64_e32 v[26:27], v[24:25], v[14:15]
	scratch_load_dwordx4 v[22:25], off, off offset:480 ; 16-byte Folded Reload
	s_waitcnt vmcnt(0)
	v_fmac_f64_e32 v[106:107], v[22:23], v[14:15]
	v_fmac_f64_e32 v[112:113], v[24:25], v[14:15]
	;; [unrolled: 4-line block ×4, first 2 shown]
	scratch_load_dwordx4 v[22:25], off, off offset:224 ; 16-byte Folded Reload
	scratch_load_dwordx2 v[14:15], off, off offset:1232 ; 8-byte Folded Reload
	s_waitcnt vmcnt(0)
	v_fmac_f64_e32 v[20:21], v[22:23], v[14:15]
	v_fmac_f64_e32 v[26:27], v[24:25], v[14:15]
	scratch_load_dwordx4 v[22:25], off, off offset:16 ; 16-byte Folded Reload
	v_fmac_f64_e32 v[106:107], v[54:55], v[14:15]
	v_fmac_f64_e32 v[112:113], v[56:57], v[14:15]
	s_waitcnt vmcnt(0)
	v_fmac_f64_e32 v[88:89], v[22:23], v[14:15]
	v_fmac_f64_e32 v[96:97], v[24:25], v[14:15]
	scratch_load_dwordx4 v[22:25], off, off offset:128 ; 16-byte Folded Reload
	s_waitcnt vmcnt(0)
	v_fmac_f64_e32 v[98:99], v[22:23], v[14:15]
	v_fmac_f64_e32 v[100:101], v[24:25], v[14:15]
	scratch_load_dwordx4 v[22:25], off, off offset:48 ; 16-byte Folded Reload
	scratch_load_dwordx2 v[14:15], off, off offset:1200 ; 8-byte Folded Reload
	s_waitcnt vmcnt(0)
	v_fmac_f64_e32 v[20:21], v[22:23], v[14:15]
	v_fmac_f64_e32 v[26:27], v[24:25], v[14:15]
	scratch_load_dwordx4 v[22:25], off, off offset:112 ; 16-byte Folded Reload
	v_fmac_f64_e32 v[88:89], v[0:1], v[14:15]
	v_fmac_f64_e32 v[96:97], v[2:3], v[14:15]
	scratch_load_dwordx4 v[0:3], off, off offset:256 ; 16-byte Folded Reload
	v_fmac_f64_e32 v[88:89], v[44:45], v[126:127]
	v_fmac_f64_e32 v[96:97], v[46:47], v[126:127]
	s_waitcnt vmcnt(1)
	v_fmac_f64_e32 v[106:107], v[22:23], v[14:15]
	v_fmac_f64_e32 v[112:113], v[24:25], v[14:15]
	scratch_load_dwordx2 v[22:23], off, off offset:752 ; 8-byte Folded Reload
	s_waitcnt vmcnt(1)
	v_fmac_f64_e32 v[98:99], v[0:1], v[14:15]
	v_fmac_f64_e32 v[100:101], v[2:3], v[14:15]
	scratch_load_dwordx4 v[0:3], off, off offset:304 ; 16-byte Folded Reload
	scratch_load_dwordx2 v[14:15], off, off offset:848 ; 8-byte Folded Reload
	v_fmac_f64_e32 v[100:101], v[52:53], v[126:127]
	v_fmac_f64_e32 v[98:99], v[50:51], v[126:127]
	s_waitcnt vmcnt(1)
	v_fmac_f64_e32 v[20:21], v[0:1], v[126:127]
	v_fmac_f64_e32 v[26:27], v[2:3], v[126:127]
	scratch_load_dwordx4 v[0:3], off, off offset:288 ; 16-byte Folded Reload
	s_waitcnt vmcnt(1)
	v_fma_f64 v[42:43], v[60:61], v[14:15], 0
	v_fmac_f64_e32 v[42:43], v[66:67], v[22:23]
	scratch_load_dwordx4 v[66:69], off, off offset:272 ; 16-byte Folded Reload
	v_fma_f64 v[52:53], v[82:83], v[14:15], 0
	v_fma_f64 v[54:55], v[84:85], v[14:15], 0
	;; [unrolled: 1-line block ×5, first 2 shown]
	v_fmac_f64_e32 v[40:41], v[64:65], v[22:23]
	v_fmac_f64_e32 v[48:49], v[72:73], v[22:23]
	;; [unrolled: 1-line block ×3, first 2 shown]
	s_waitcnt vmcnt(1)
	v_fmac_f64_e32 v[106:107], v[0:1], v[126:127]
	v_fmac_f64_e32 v[112:113], v[2:3], v[126:127]
	scratch_load_dwordx4 v[0:3], off, off offset:320 ; 16-byte Folded Reload
	s_waitcnt vmcnt(1)
	v_fma_f64 v[44:45], v[66:67], v[14:15], 0
	v_fma_f64 v[46:47], v[68:69], v[14:15], 0
	v_fmac_f64_e32 v[44:45], v[90:91], v[22:23]
	v_fmac_f64_e32 v[46:47], v[92:93], v[22:23]
	s_waitcnt vmcnt(0)
	v_fmac_f64_e32 v[52:53], v[0:1], v[22:23]
	v_fmac_f64_e32 v[54:55], v[2:3], v[22:23]
	scratch_load_dwordx2 v[14:15], off, off offset:672 ; 8-byte Folded Reload
	scratch_load_dwordx4 v[0:3], off, off offset:416 ; 16-byte Folded Reload
	s_waitcnt vmcnt(0)
	v_fmac_f64_e32 v[40:41], v[0:1], v[14:15]
	v_fmac_f64_e32 v[42:43], v[2:3], v[14:15]
	scratch_load_dwordx4 v[0:3], off, off   ; 16-byte Folded Reload
	s_waitcnt vmcnt(0)
	v_fmac_f64_e32 v[44:45], v[0:1], v[14:15]
	v_fmac_f64_e32 v[46:47], v[2:3], v[14:15]
	scratch_load_dwordx4 v[0:3], off, off offset:336 ; 16-byte Folded Reload
	s_waitcnt vmcnt(0)
	v_fmac_f64_e32 v[48:49], v[0:1], v[14:15]
	v_fmac_f64_e32 v[50:51], v[2:3], v[14:15]
	scratch_load_dwordx4 v[0:3], off, off offset:32 ; 16-byte Folded Reload
	s_waitcnt vmcnt(0)
	v_fmac_f64_e32 v[52:53], v[0:1], v[14:15]
	v_fmac_f64_e32 v[54:55], v[2:3], v[14:15]
	scratch_load_dwordx2 v[14:15], off, off offset:800 ; 8-byte Folded Reload
	scratch_load_dwordx4 v[0:3], off, off offset:192 ; 16-byte Folded Reload
	scratch_load_dwordx4 v[90:93], off, off offset:144 ; 16-byte Folded Reload
	scratch_load_dwordx4 v[108:111], off, off offset:384 ; 16-byte Folded Reload
	s_waitcnt vmcnt(2)
	v_fmac_f64_e32 v[40:41], v[0:1], v[14:15]
	v_fmac_f64_e32 v[42:43], v[2:3], v[14:15]
	scratch_load_dwordx4 v[0:3], off, off offset:64 ; 16-byte Folded Reload
	s_waitcnt vmcnt(2)
	v_fmac_f64_e32 v[44:45], v[90:91], v[14:15]
	v_fmac_f64_e32 v[46:47], v[92:93], v[14:15]
	s_waitcnt vmcnt(1)
	v_fmac_f64_e32 v[48:49], v[108:109], v[14:15]
	v_fmac_f64_e32 v[50:51], v[110:111], v[14:15]
	;; [unrolled: 3-line block ×3, first 2 shown]
	scratch_load_dwordx2 v[14:15], off, off offset:624 ; 8-byte Folded Reload
	scratch_load_dwordx4 v[0:3], off, off offset:448 ; 16-byte Folded Reload
	scratch_load_dwordx4 v[82:85], off, off offset:480 ; 16-byte Folded Reload
	s_waitcnt vmcnt(1)
	v_fmac_f64_e32 v[40:41], v[0:1], v[14:15]
	v_fmac_f64_e32 v[42:43], v[2:3], v[14:15]
	scratch_load_dwordx4 v[0:3], off, off offset:208 ; 16-byte Folded Reload
	s_waitcnt vmcnt(0)
	v_fmac_f64_e32 v[48:49], v[0:1], v[14:15]
	v_fmac_f64_e32 v[50:51], v[2:3], v[14:15]
	scratch_load_dwordx4 v[0:3], off, off offset:80 ; 16-byte Folded Reload
	v_fmac_f64_e32 v[44:45], v[82:83], v[14:15]
	v_fmac_f64_e32 v[46:47], v[84:85], v[14:15]
	s_waitcnt vmcnt(0)
	v_fmac_f64_e32 v[52:53], v[0:1], v[14:15]
	v_fmac_f64_e32 v[54:55], v[2:3], v[14:15]
	scratch_load_dwordx2 v[14:15], off, off offset:560 ; 8-byte Folded Reload
	scratch_load_dwordx4 v[0:3], off, off offset:224 ; 16-byte Folded Reload
	scratch_load_dwordx4 v[72:75], off, off offset:432 ; 16-byte Folded Reload
	s_waitcnt vmcnt(1)
	v_fmac_f64_e32 v[40:41], v[0:1], v[14:15]
	v_fmac_f64_e32 v[42:43], v[2:3], v[14:15]
	scratch_load_dwordx4 v[0:3], off, off offset:16 ; 16-byte Folded Reload
	s_waitcnt vmcnt(1)
	v_fmac_f64_e32 v[44:45], v[72:73], v[14:15]
	v_fmac_f64_e32 v[46:47], v[74:75], v[14:15]
	s_waitcnt vmcnt(0)
	v_fmac_f64_e32 v[48:49], v[0:1], v[14:15]
	v_fmac_f64_e32 v[50:51], v[2:3], v[14:15]
	scratch_load_dwordx4 v[0:3], off, off offset:128 ; 16-byte Folded Reload
	s_waitcnt vmcnt(0)
	v_fmac_f64_e32 v[52:53], v[0:1], v[14:15]
	v_fmac_f64_e32 v[54:55], v[2:3], v[14:15]
	scratch_load_dwordx2 v[126:127], off, off offset:1176 ; 8-byte Folded Reload
	scratch_load_dwordx4 v[0:3], off, off offset:48 ; 16-byte Folded Reload
	scratch_load_dwordx2 v[14:15], off, off offset:528 ; 8-byte Folded Reload
	s_waitcnt vmcnt(1)
	v_fmac_f64_e32 v[40:41], v[0:1], v[126:127]
	v_fmac_f64_e32 v[42:43], v[2:3], v[126:127]
	scratch_load_dwordx4 v[0:3], off, off offset:112 ; 16-byte Folded Reload
	s_waitcnt vmcnt(1)
	v_fma_f64 v[56:57], v[58:59], v[14:15], 0
	v_fma_f64 v[58:59], v[60:61], v[14:15], 0
	;; [unrolled: 1-line block ×6, first 2 shown]
	s_waitcnt vmcnt(0)
	v_fmac_f64_e32 v[44:45], v[0:1], v[126:127]
	v_fmac_f64_e32 v[46:47], v[2:3], v[126:127]
	scratch_load_dwordx4 v[0:3], off, off offset:240 ; 16-byte Folded Reload
	s_waitcnt vmcnt(0)
	v_fmac_f64_e32 v[48:49], v[0:1], v[126:127]
	v_fmac_f64_e32 v[50:51], v[2:3], v[126:127]
	scratch_load_dwordx4 v[0:3], off, off offset:256 ; 16-byte Folded Reload
	;; [unrolled: 4-line block ×6, first 2 shown]
	s_waitcnt vmcnt(0)
	v_fmac_f64_e32 v[52:53], v[0:1], v[86:87]
	v_fmac_f64_e32 v[54:55], v[2:3], v[86:87]
	scratch_load_dwordx2 v[22:23], off, off offset:688 ; 8-byte Folded Reload
	scratch_load_dwordx4 v[0:3], off, off offset:176 ; 16-byte Folded Reload
	scratch_load_dwordx4 v[64:67], off, off offset:736 ; 16-byte Folded Reload
	s_waitcnt vmcnt(2)
	v_fmac_f64_e32 v[94:95], v[78:79], v[22:23]
	s_waitcnt vmcnt(1)
	v_fmac_f64_e32 v[56:57], v[0:1], v[22:23]
	v_fmac_f64_e32 v[58:59], v[2:3], v[22:23]
	scratch_load_dwordx4 v[0:3], off, off offset:160 ; 16-byte Folded Reload
	s_waitcnt vmcnt(1)
	v_fma_f64 v[116:117], v[64:65], v[14:15], 0
	v_fma_f64 v[64:65], v[66:67], v[14:15], 0
	v_fmac_f64_e32 v[102:103], v[80:81], v[22:23]
	s_waitcnt vmcnt(0)
	v_fmac_f64_e32 v[60:61], v[0:1], v[22:23]
	v_fmac_f64_e32 v[68:69], v[2:3], v[22:23]
	scratch_load_dwordx4 v[0:3], off, off offset:320 ; 16-byte Folded Reload
	s_waitcnt vmcnt(0)
	v_fmac_f64_e32 v[116:117], v[0:1], v[22:23]
	v_fmac_f64_e32 v[64:65], v[2:3], v[22:23]
	scratch_load_dwordx2 v[14:15], off, off offset:640 ; 8-byte Folded Reload
	scratch_load_dwordx4 v[0:3], off, off offset:416 ; 16-byte Folded Reload
	scratch_load_dwordx4 v[22:25], off, off offset:64 ; 16-byte Folded Reload
	s_waitcnt vmcnt(1)
	v_fmac_f64_e32 v[56:57], v[0:1], v[14:15]
	v_fmac_f64_e32 v[58:59], v[2:3], v[14:15]
	scratch_load_dwordx4 v[0:3], off, off   ; 16-byte Folded Reload
	s_waitcnt vmcnt(0)
	v_fmac_f64_e32 v[60:61], v[0:1], v[14:15]
	v_fmac_f64_e32 v[68:69], v[2:3], v[14:15]
	scratch_load_dwordx4 v[0:3], off, off offset:336 ; 16-byte Folded Reload
	scratch_load_dwordx4 v[78:81], off, off offset:112 ; 16-byte Folded Reload
	;; [unrolled: 1-line block ×3, first 2 shown]
	s_waitcnt vmcnt(2)
	v_fmac_f64_e32 v[94:95], v[0:1], v[14:15]
	v_fmac_f64_e32 v[102:103], v[2:3], v[14:15]
	s_waitcnt vmcnt(0)
	v_fmac_f64_e32 v[116:117], v[122:123], v[14:15]
	v_fmac_f64_e32 v[64:65], v[124:125], v[14:15]
	scratch_load_dwordx2 v[14:15], off, off offset:656 ; 8-byte Folded Reload
	scratch_load_dwordx4 v[0:3], off, off offset:192 ; 16-byte Folded Reload
	s_waitcnt vmcnt(1)
	v_fmac_f64_e32 v[60:61], v[90:91], v[14:15]
	s_waitcnt vmcnt(0)
	v_fmac_f64_e32 v[56:57], v[0:1], v[14:15]
	v_fmac_f64_e32 v[58:59], v[2:3], v[14:15]
	;; [unrolled: 1-line block ×7, first 2 shown]
	scratch_load_dwordx2 v[14:15], off, off offset:608 ; 8-byte Folded Reload
	scratch_load_dwordx4 v[0:3], off, off offset:448 ; 16-byte Folded Reload
	scratch_load_dwordx4 v[22:25], off, off offset:80 ; 16-byte Folded Reload
	s_waitcnt vmcnt(2)
	v_fmac_f64_e32 v[60:61], v[82:83], v[14:15]
	s_waitcnt vmcnt(1)
	v_fmac_f64_e32 v[56:57], v[0:1], v[14:15]
	v_fmac_f64_e32 v[58:59], v[2:3], v[14:15]
	scratch_load_dwordx4 v[0:3], off, off offset:208 ; 16-byte Folded Reload
	v_fmac_f64_e32 v[68:69], v[84:85], v[14:15]
	s_waitcnt vmcnt(1)
	v_fmac_f64_e32 v[116:117], v[22:23], v[14:15]
	v_fmac_f64_e32 v[64:65], v[24:25], v[14:15]
	s_waitcnt vmcnt(0)
	v_fmac_f64_e32 v[94:95], v[0:1], v[14:15]
	v_fmac_f64_e32 v[102:103], v[2:3], v[14:15]
	scratch_load_dwordx2 v[14:15], off, off offset:496 ; 8-byte Folded Reload
	scratch_load_dwordx4 v[0:3], off, off offset:224 ; 16-byte Folded Reload
	s_waitcnt vmcnt(1)
	v_fmac_f64_e32 v[60:61], v[72:73], v[14:15]
	s_waitcnt vmcnt(0)
	v_fmac_f64_e32 v[56:57], v[0:1], v[14:15]
	v_fmac_f64_e32 v[58:59], v[2:3], v[14:15]
	scratch_load_dwordx4 v[0:3], off, off offset:16 ; 16-byte Folded Reload
	v_fmac_f64_e32 v[68:69], v[74:75], v[14:15]
	s_waitcnt vmcnt(0)
	v_fmac_f64_e32 v[94:95], v[0:1], v[14:15]
	v_fmac_f64_e32 v[102:103], v[2:3], v[14:15]
	scratch_load_dwordx4 v[0:3], off, off offset:128 ; 16-byte Folded Reload
	s_waitcnt vmcnt(0)
	v_fmac_f64_e32 v[116:117], v[0:1], v[14:15]
	v_fmac_f64_e32 v[64:65], v[2:3], v[14:15]
	scratch_load_dwordx2 v[14:15], off, off offset:544 ; 8-byte Folded Reload
	scratch_load_dwordx4 v[0:3], off, off offset:48 ; 16-byte Folded Reload
	s_waitcnt vmcnt(1)
	v_fmac_f64_e32 v[60:61], v[78:79], v[14:15]
	s_waitcnt vmcnt(0)
	v_fmac_f64_e32 v[56:57], v[0:1], v[14:15]
	v_fmac_f64_e32 v[58:59], v[2:3], v[14:15]
	scratch_load_dwordx4 v[0:3], off, off offset:240 ; 16-byte Folded Reload
	v_fmac_f64_e32 v[68:69], v[80:81], v[14:15]
	s_waitcnt vmcnt(0)
	v_fmac_f64_e32 v[94:95], v[0:1], v[14:15]
	v_fmac_f64_e32 v[102:103], v[2:3], v[14:15]
	scratch_load_dwordx4 v[0:3], off, off offset:256 ; 16-byte Folded Reload
	s_waitcnt vmcnt(0)
	v_fmac_f64_e32 v[116:117], v[0:1], v[14:15]
	v_fmac_f64_e32 v[64:65], v[2:3], v[14:15]
	scratch_load_dwordx2 v[126:127], off, off offset:512 ; 8-byte Folded Reload
	scratch_load_dwordx4 v[0:3], off, off offset:304 ; 16-byte Folded Reload
	scratch_load_dwordx4 v[22:25], off, off offset:96 ; 16-byte Folded Reload
	s_waitcnt vmcnt(1)
	v_fmac_f64_e32 v[56:57], v[0:1], v[126:127]
	v_fmac_f64_e32 v[58:59], v[2:3], v[126:127]
	scratch_load_dwordx4 v[0:3], off, off offset:288 ; 16-byte Folded Reload
	s_waitcnt vmcnt(1)
	v_fmac_f64_e32 v[94:95], v[22:23], v[126:127]
	v_fmac_f64_e32 v[102:103], v[24:25], v[126:127]
	scratch_load_dwordx4 v[22:25], off, off offset:352 ; 16-byte Folded Reload
	scratch_load_dwordx4 v[72:75], off, off offset:2064 ; 16-byte Folded Reload
	scratch_load_dwordx2 v[14:15], off, off offset:1072 ; 8-byte Folded Reload
	s_waitcnt vmcnt(3)
	v_fmac_f64_e32 v[68:69], v[2:3], v[126:127]
	v_fmac_f64_e32 v[60:61], v[0:1], v[126:127]
	s_waitcnt vmcnt(2)
	v_fmac_f64_e32 v[116:117], v[22:23], v[126:127]
	s_waitcnt vmcnt(0)
	v_add_f64 v[90:91], v[72:73], v[14:15]
	scratch_load_dwordx2 v[14:15], off, off offset:1168 ; 8-byte Folded Reload
	v_fmac_f64_e32 v[64:65], v[24:25], v[126:127]
	s_waitcnt vmcnt(0)
	v_add_f64 v[92:93], v[74:75], v[14:15]
	scratch_load_dwordx4 v[72:75], off, off offset:2048 ; 16-byte Folded Reload
	scratch_load_dwordx2 v[14:15], off, off offset:1192 ; 8-byte Folded Reload
	s_waitcnt vmcnt(1)
	v_add_f64 v[110:111], v[74:75], v[30:31]
	s_waitcnt vmcnt(0)
	v_add_f64 v[108:109], v[72:73], v[14:15]
	scratch_load_dwordx4 v[72:75], off, off offset:2032 ; 16-byte Folded Reload
	s_waitcnt vmcnt(0)
	v_add_f64 v[14:15], v[72:73], v[16:17]
	v_add_f64 v[16:17], v[74:75], v[20:21]
	scratch_store_dwordx4 off, v[14:17], off offset:848 ; 16-byte Folded Spill
	scratch_load_dwordx4 v[14:17], off, off offset:2016 ; 16-byte Folded Reload
	s_waitcnt vmcnt(0)
	v_add_f64 v[14:15], v[14:15], v[40:41]
	v_add_f64 v[16:17], v[16:17], v[56:57]
	scratch_store_dwordx4 off, v[14:17], off offset:960 ; 16-byte Folded Spill
	scratch_load_dwordx4 v[14:17], off, off offset:2128 ; 16-byte Folded Reload
	s_nop 0
	scratch_load_dwordx2 v[2:3], off, off offset:880 ; 8-byte Folded Reload
	s_waitcnt vmcnt(0)
	v_add_f64 v[14:15], v[14:15], v[2:3]
	scratch_load_dwordx2 v[2:3], off, off offset:1064 ; 8-byte Folded Reload
	s_waitcnt vmcnt(0)
	v_add_f64 v[16:17], v[16:17], v[2:3]
	scratch_store_dwordx4 off, v[14:17], off offset:816 ; 16-byte Folded Spill
	scratch_load_dwordx4 v[14:17], off, off offset:2112 ; 16-byte Folded Reload
	s_nop 0
	scratch_load_dwordx2 v[2:3], off, off offset:1160 ; 8-byte Folded Reload
	s_waitcnt vmcnt(1)
	v_add_f64 v[16:17], v[16:17], v[62:63]
	s_waitcnt vmcnt(0)
	v_add_f64 v[14:15], v[14:15], v[2:3]
	scratch_store_dwordx4 off, v[14:17], off offset:528 ; 16-byte Folded Spill
	scratch_load_dwordx4 v[14:17], off, off offset:2096 ; 16-byte Folded Reload
	s_waitcnt vmcnt(0)
	v_add_f64 v[14:15], v[14:15], v[18:19]
	v_add_f64 v[16:17], v[16:17], v[26:27]
	scratch_store_dwordx4 off, v[14:17], off offset:752 ; 16-byte Folded Spill
	scratch_load_dwordx4 v[14:17], off, off offset:2080 ; 16-byte Folded Reload
	s_waitcnt vmcnt(0)
	v_add_f64 v[14:15], v[14:15], v[42:43]
	v_add_f64 v[16:17], v[16:17], v[58:59]
	scratch_store_dwordx4 off, v[14:17], off offset:688 ; 16-byte Folded Spill
	scratch_load_dwordx4 v[14:17], off, off offset:2192 ; 16-byte Folded Reload
	s_nop 0
	scratch_load_dwordx2 v[2:3], off, off offset:832 ; 8-byte Folded Reload
	s_waitcnt vmcnt(0)
	v_add_f64 v[14:15], v[14:15], v[2:3]
	scratch_load_dwordx2 v[2:3], off, off offset:1040 ; 8-byte Folded Reload
	s_waitcnt vmcnt(0)
	v_add_f64 v[16:17], v[16:17], v[2:3]
	scratch_store_dwordx4 off, v[14:17], off offset:800 ; 16-byte Folded Spill
	scratch_load_dwordx4 v[14:17], off, off offset:2176 ; 16-byte Folded Reload
	s_nop 0
	scratch_load_dwordx2 v[2:3], off, off offset:1152 ; 8-byte Folded Reload
	s_waitcnt vmcnt(1)
	v_add_f64 v[16:17], v[16:17], v[10:11]
	s_waitcnt vmcnt(0)
	v_add_f64 v[14:15], v[14:15], v[2:3]
	scratch_store_dwordx4 off, v[14:17], off offset:672 ; 16-byte Folded Spill
	scratch_load_dwordx4 v[14:17], off, off offset:2160 ; 16-byte Folded Reload
	s_waitcnt vmcnt(0)
	v_add_f64 v[14:15], v[14:15], v[34:35]
	v_add_f64 v[16:17], v[16:17], v[106:107]
	scratch_store_dwordx4 off, v[14:17], off offset:656 ; 16-byte Folded Spill
	scratch_load_dwordx4 v[14:17], off, off offset:2144 ; 16-byte Folded Reload
	s_waitcnt vmcnt(0)
	v_add_f64 v[14:15], v[14:15], v[44:45]
	v_add_f64 v[16:17], v[16:17], v[60:61]
	scratch_store_dwordx4 off, v[14:17], off offset:640 ; 16-byte Folded Spill
	scratch_load_dwordx4 v[14:17], off, off offset:2256 ; 16-byte Folded Reload
	s_nop 0
	scratch_load_dwordx2 v[2:3], off, off offset:784 ; 8-byte Folded Reload
	s_waitcnt vmcnt(0)
	v_add_f64 v[56:57], v[14:15], v[2:3]
	scratch_load_dwordx2 v[2:3], off, off offset:1032 ; 8-byte Folded Reload
	s_waitcnt vmcnt(0)
	v_add_f64 v[58:59], v[16:17], v[2:3]
	scratch_load_dwordx4 v[14:17], off, off offset:2240 ; 16-byte Folded Reload
	scratch_load_dwordx2 v[0:1], off, off offset:1224 ; 8-byte Folded Reload
	s_waitcnt vmcnt(1)
	v_add_f64 v[84:85], v[16:17], v[8:9]
	scratch_load_dwordx4 v[8:11], off, off offset:2224 ; 16-byte Folded Reload
	s_waitcnt vmcnt(1)
	v_add_f64 v[82:83], v[14:15], v[0:1]
	s_waitcnt vmcnt(0)
	v_add_f64 v[8:9], v[8:9], v[36:37]
	v_add_f64 v[10:11], v[10:11], v[112:113]
	scratch_store_dwordx4 off, v[8:11], off offset:864 ; 16-byte Folded Spill
	scratch_load_dwordx4 v[8:11], off, off offset:2208 ; 16-byte Folded Reload
	s_waitcnt vmcnt(0)
	v_add_f64 v[72:73], v[8:9], v[46:47]
	v_add_f64 v[74:75], v[10:11], v[68:69]
	scratch_load_dwordx4 v[8:11], off, off offset:2320 ; 16-byte Folded Reload
	scratch_load_dwordx2 v[2:3], off, off offset:768 ; 8-byte Folded Reload
	s_waitcnt vmcnt(0)
	v_add_f64 v[8:9], v[8:9], v[2:3]
	scratch_load_dwordx2 v[2:3], off, off offset:1024 ; 8-byte Folded Reload
	s_waitcnt vmcnt(0)
	v_add_f64 v[10:11], v[10:11], v[2:3]
	scratch_store_dwordx4 off, v[8:11], off offset:624 ; 16-byte Folded Spill
	scratch_load_dwordx4 v[8:11], off, off offset:2304 ; 16-byte Folded Reload
	s_waitcnt vmcnt(0)
	v_add_f64 v[8:9], v[8:9], v[120:121]
	v_add_f64 v[10:11], v[10:11], v[6:7]
	scratch_store_dwordx4 off, v[8:11], off offset:608 ; 16-byte Folded Spill
	scratch_load_dwordx4 v[6:9], off, off offset:2288 ; 16-byte Folded Reload
	s_waitcnt vmcnt(0)
	v_add_f64 v[34:35], v[6:7], v[104:105]
	v_add_f64 v[36:37], v[8:9], v[88:89]
	scratch_load_dwordx4 v[6:9], off, off offset:2272 ; 16-byte Folded Reload
	s_waitcnt vmcnt(0)
	v_add_f64 v[78:79], v[6:7], v[48:49]
	v_add_f64 v[80:81], v[8:9], v[94:95]
	scratch_load_dwordx4 v[6:9], off, off offset:2384 ; 16-byte Folded Reload
	scratch_load_dwordx2 v[2:3], off, off offset:576 ; 8-byte Folded Reload
	s_waitcnt vmcnt(0)
	v_add_f64 v[6:7], v[6:7], v[2:3]
	scratch_load_dwordx2 v[2:3], off, off offset:1016 ; 8-byte Folded Reload
	s_waitcnt vmcnt(0)
	v_add_f64 v[8:9], v[8:9], v[2:3]
	scratch_store_dwordx4 off, v[6:9], off offset:496 ; 16-byte Folded Spill
	scratch_load_dwordx4 v[6:9], off, off offset:2368 ; 16-byte Folded Reload
	s_waitcnt vmcnt(0)
	v_add_f64 v[2:3], v[6:7], v[70:71]
	v_add_f64 v[4:5], v[8:9], v[4:5]
	scratch_store_dwordx4 off, v[2:5], off offset:576 ; 16-byte Folded Spill
	scratch_load_dwordx4 v[4:7], off, off offset:2352 ; 16-byte Folded Reload
	s_waitcnt vmcnt(0)
	v_add_f64 v[2:3], v[4:5], v[114:115]
	v_add_f64 v[4:5], v[6:7], v[96:97]
	scratch_store_dwordx4 off, v[2:5], off offset:560 ; 16-byte Folded Spill
	scratch_load_dwordx4 v[4:7], off, off offset:2336 ; 16-byte Folded Reload
	s_waitcnt vmcnt(0)
	v_mov_b64_e32 v[126:127], v[6:7]
	v_add_f64 v[2:3], v[4:5], v[50:51]
	v_mov_b64_e32 v[124:125], v[4:5]
	v_add_f64 v[4:5], v[126:127], v[102:103]
	scratch_store_dwordx4 off, v[2:5], off offset:544 ; 16-byte Folded Spill
	scratch_load_dwordx4 v[4:7], off, off offset:2448 ; 16-byte Folded Reload
	s_nop 0
	scratch_load_dwordx2 v[2:3], off, off offset:720 ; 8-byte Folded Reload
	s_waitcnt vmcnt(0)
	v_add_f64 v[2:3], v[4:5], v[2:3]
	scratch_load_dwordx2 v[4:5], off, off offset:896 ; 8-byte Folded Reload
	s_waitcnt vmcnt(0)
	v_add_f64 v[4:5], v[6:7], v[4:5]
	scratch_store_dwordx4 off, v[2:5], off offset:896 ; 16-byte Folded Spill
	scratch_load_dwordx4 v[4:7], off, off offset:2432 ; 16-byte Folded Reload
	s_waitcnt vmcnt(0)
	v_add_f64 v[2:3], v[4:5], v[38:39]
	v_add_f64 v[4:5], v[6:7], v[28:29]
	scratch_store_dwordx4 off, v[2:5], off offset:720 ; 16-byte Folded Spill
	scratch_load_dwordx4 v[2:5], off, off offset:2416 ; 16-byte Folded Reload
	s_waitcnt vmcnt(0)
	v_add_f64 v[2:3], v[2:3], v[76:77]
	v_add_f64 v[4:5], v[4:5], v[98:99]
	scratch_store_dwordx4 off, v[2:5], off offset:880 ; 16-byte Folded Spill
	scratch_load_dwordx4 v[2:5], off, off offset:2400 ; 16-byte Folded Reload
	s_waitcnt vmcnt(0)
	v_add_f64 v[2:3], v[2:3], v[52:53]
	v_add_f64 v[4:5], v[4:5], v[116:117]
	scratch_store_dwordx4 off, v[2:5], off offset:832 ; 16-byte Folded Spill
	scratch_load_dwordx4 v[2:5], off, off offset:2512 ; 16-byte Folded Reload
	s_nop 0
	scratch_load_dwordx2 v[6:7], off, off offset:704 ; 8-byte Folded Reload
	scratch_load_dwordx4 v[86:89], off, off offset:2464 ; 16-byte Folded Reload
	s_waitcnt vmcnt(1)
	v_add_f64 v[2:3], v[2:3], v[6:7]
	scratch_load_dwordx2 v[6:7], off, off offset:1008 ; 8-byte Folded Reload
	s_waitcnt vmcnt(0)
	v_add_f64 v[4:5], v[4:5], v[6:7]
	scratch_store_dwordx4 off, v[2:5], off offset:704 ; 16-byte Folded Spill
	scratch_load_dwordx4 v[2:5], off, off offset:2496 ; 16-byte Folded Reload
	v_add_f64 v[6:7], v[88:89], v[64:65]
	s_waitcnt vmcnt(0)
	v_add_f64 v[2:3], v[2:3], v[32:33]
	v_add_f64 v[4:5], v[4:5], v[12:13]
	scratch_store_dwordx4 off, v[2:5], off offset:784 ; 16-byte Folded Spill
	scratch_load_dwordx4 v[0:3], off, off offset:2480 ; 16-byte Folded Reload
	s_waitcnt vmcnt(0)
	v_add_f64 v[0:1], v[0:1], v[118:119]
	v_add_f64 v[2:3], v[2:3], v[100:101]
	;; [unrolled: 1-line block ×3, first 2 shown]
	scratch_store_dwordx4 off, v[0:3], off offset:768 ; 16-byte Folded Spill
	scratch_store_dwordx4 off, v[4:7], off offset:512 ; 16-byte Folded Spill
	scratch_load_dwordx4 v[6:9], off, off offset:1080 ; 16-byte Folded Reload
	s_nop 0
	scratch_load_dwordx4 v[10:13], off, off offset:1096 ; 16-byte Folded Reload
	scratch_load_dwordx4 v[14:17], off, off offset:1112 ; 16-byte Folded Reload
	;; [unrolled: 1-line block ×3, first 2 shown]
	scratch_load_dwordx2 v[102:103], off, off offset:592 ; 8-byte Folded Reload
	s_branch .LBB0_40
.LBB0_48:                               ;   in Loop: Header=BB0_41 Depth=1
	scratch_load_dwordx4 v[72:75], off, off offset:592 ; 16-byte Folded Reload
	s_branch .LBB0_43
.LBB0_49:
	s_endpgm
	.section	.rodata,"a",@progbits
	.p2align	6, 0x0
	.amdhsa_kernel _Z6kalmanILi8EEvPKdiS1_S1_S1_S1_S1_bS1_iPdS2_S2_iiS2_bS2_
		.amdhsa_group_segment_fixed_size 0
		.amdhsa_private_segment_fixed_size 2596
		.amdhsa_kernarg_size 392
		.amdhsa_user_sgpr_count 2
		.amdhsa_user_sgpr_dispatch_ptr 0
		.amdhsa_user_sgpr_queue_ptr 0
		.amdhsa_user_sgpr_kernarg_segment_ptr 1
		.amdhsa_user_sgpr_dispatch_id 0
		.amdhsa_user_sgpr_kernarg_preload_length 0
		.amdhsa_user_sgpr_kernarg_preload_offset 0
		.amdhsa_user_sgpr_private_segment_size 0
		.amdhsa_uses_dynamic_stack 0
		.amdhsa_enable_private_segment 1
		.amdhsa_system_sgpr_workgroup_id_x 1
		.amdhsa_system_sgpr_workgroup_id_y 0
		.amdhsa_system_sgpr_workgroup_id_z 0
		.amdhsa_system_sgpr_workgroup_info 0
		.amdhsa_system_vgpr_workitem_id 0
		.amdhsa_next_free_vgpr 128
		.amdhsa_next_free_sgpr 24
		.amdhsa_accum_offset 128
		.amdhsa_reserve_vcc 1
		.amdhsa_float_round_mode_32 0
		.amdhsa_float_round_mode_16_64 0
		.amdhsa_float_denorm_mode_32 3
		.amdhsa_float_denorm_mode_16_64 3
		.amdhsa_dx10_clamp 1
		.amdhsa_ieee_mode 1
		.amdhsa_fp16_overflow 0
		.amdhsa_tg_split 0
		.amdhsa_exception_fp_ieee_invalid_op 0
		.amdhsa_exception_fp_denorm_src 0
		.amdhsa_exception_fp_ieee_div_zero 0
		.amdhsa_exception_fp_ieee_overflow 0
		.amdhsa_exception_fp_ieee_underflow 0
		.amdhsa_exception_fp_ieee_inexact 0
		.amdhsa_exception_int_div_zero 0
	.end_amdhsa_kernel
	.section	.text._Z6kalmanILi8EEvPKdiS1_S1_S1_S1_S1_bS1_iPdS2_S2_iiS2_bS2_,"axG",@progbits,_Z6kalmanILi8EEvPKdiS1_S1_S1_S1_S1_bS1_iPdS2_S2_iiS2_bS2_,comdat
.Lfunc_end0:
	.size	_Z6kalmanILi8EEvPKdiS1_S1_S1_S1_S1_bS1_iPdS2_S2_iiS2_bS2_, .Lfunc_end0-_Z6kalmanILi8EEvPKdiS1_S1_S1_S1_S1_bS1_iPdS2_S2_iiS2_bS2_
                                        ; -- End function
	.set _Z6kalmanILi8EEvPKdiS1_S1_S1_S1_S1_bS1_iPdS2_S2_iiS2_bS2_.num_vgpr, 128
	.set _Z6kalmanILi8EEvPKdiS1_S1_S1_S1_S1_bS1_iPdS2_S2_iiS2_bS2_.num_agpr, 0
	.set _Z6kalmanILi8EEvPKdiS1_S1_S1_S1_S1_bS1_iPdS2_S2_iiS2_bS2_.numbered_sgpr, 24
	.set _Z6kalmanILi8EEvPKdiS1_S1_S1_S1_S1_bS1_iPdS2_S2_iiS2_bS2_.num_named_barrier, 0
	.set _Z6kalmanILi8EEvPKdiS1_S1_S1_S1_S1_bS1_iPdS2_S2_iiS2_bS2_.private_seg_size, 2596
	.set _Z6kalmanILi8EEvPKdiS1_S1_S1_S1_S1_bS1_iPdS2_S2_iiS2_bS2_.uses_vcc, 1
	.set _Z6kalmanILi8EEvPKdiS1_S1_S1_S1_S1_bS1_iPdS2_S2_iiS2_bS2_.uses_flat_scratch, 0
	.set _Z6kalmanILi8EEvPKdiS1_S1_S1_S1_S1_bS1_iPdS2_S2_iiS2_bS2_.has_dyn_sized_stack, 0
	.set _Z6kalmanILi8EEvPKdiS1_S1_S1_S1_S1_bS1_iPdS2_S2_iiS2_bS2_.has_recursion, 0
	.set _Z6kalmanILi8EEvPKdiS1_S1_S1_S1_S1_bS1_iPdS2_S2_iiS2_bS2_.has_indirect_call, 0
	.section	.AMDGPU.csdata,"",@progbits
; Kernel info:
; codeLenInByte = 36388
; TotalNumSgprs: 30
; NumVgprs: 128
; NumAgprs: 0
; TotalNumVgprs: 128
; ScratchSize: 2596
; MemoryBound: 0
; FloatMode: 240
; IeeeMode: 1
; LDSByteSize: 0 bytes/workgroup (compile time only)
; SGPRBlocks: 3
; VGPRBlocks: 15
; NumSGPRsForWavesPerEU: 30
; NumVGPRsForWavesPerEU: 128
; AccumOffset: 128
; Occupancy: 4
; WaveLimiterHint : 0
; COMPUTE_PGM_RSRC2:SCRATCH_EN: 1
; COMPUTE_PGM_RSRC2:USER_SGPR: 2
; COMPUTE_PGM_RSRC2:TRAP_HANDLER: 0
; COMPUTE_PGM_RSRC2:TGID_X_EN: 1
; COMPUTE_PGM_RSRC2:TGID_Y_EN: 0
; COMPUTE_PGM_RSRC2:TGID_Z_EN: 0
; COMPUTE_PGM_RSRC2:TIDIG_COMP_CNT: 0
; COMPUTE_PGM_RSRC3_GFX90A:ACCUM_OFFSET: 31
; COMPUTE_PGM_RSRC3_GFX90A:TG_SPLIT: 0
	.section	.AMDGPU.gpr_maximums,"",@progbits
	.set amdgpu.max_num_vgpr, 0
	.set amdgpu.max_num_agpr, 0
	.set amdgpu.max_num_sgpr, 0
	.section	.AMDGPU.csdata,"",@progbits
	.type	__hip_cuid_818e44dcc51e320a,@object ; @__hip_cuid_818e44dcc51e320a
	.section	.bss,"aw",@nobits
	.globl	__hip_cuid_818e44dcc51e320a
__hip_cuid_818e44dcc51e320a:
	.byte	0                               ; 0x0
	.size	__hip_cuid_818e44dcc51e320a, 1

	.ident	"AMD clang version 22.0.0git (https://github.com/RadeonOpenCompute/llvm-project roc-7.2.4 26084 f58b06dce1f9c15707c5f808fd002e18c2accf7e)"
	.section	".note.GNU-stack","",@progbits
	.addrsig
	.addrsig_sym __hip_cuid_818e44dcc51e320a
	.amdgpu_metadata
---
amdhsa.kernels:
  - .agpr_count:     0
    .args:
      - .actual_access:  read_only
        .address_space:  global
        .offset:         0
        .size:           8
        .value_kind:     global_buffer
      - .offset:         8
        .size:           4
        .value_kind:     by_value
      - .actual_access:  read_only
        .address_space:  global
        .offset:         16
        .size:           8
        .value_kind:     global_buffer
      - .actual_access:  read_only
        .address_space:  global
        .offset:         24
        .size:           8
        .value_kind:     global_buffer
      - .actual_access:  read_only
        .address_space:  global
        .offset:         32
        .size:           8
        .value_kind:     global_buffer
      - .actual_access:  read_only
        .address_space:  global
        .offset:         40
        .size:           8
        .value_kind:     global_buffer
      - .actual_access:  read_only
        .address_space:  global
        .offset:         48
        .size:           8
        .value_kind:     global_buffer
      - .offset:         56
        .size:           1
        .value_kind:     by_value
      - .actual_access:  read_only
        .address_space:  global
        .offset:         64
        .size:           8
        .value_kind:     global_buffer
      - .offset:         72
        .size:           4
        .value_kind:     by_value
      - .actual_access:  write_only
        .address_space:  global
        .offset:         80
        .size:           8
        .value_kind:     global_buffer
      - .actual_access:  write_only
        .address_space:  global
        .offset:         88
        .size:           8
        .value_kind:     global_buffer
      - .actual_access:  write_only
        .address_space:  global
        .offset:         96
        .size:           8
        .value_kind:     global_buffer
      - .offset:         104
        .size:           4
        .value_kind:     by_value
      - .offset:         108
        .size:           4
        .value_kind:     by_value
      - .actual_access:  write_only
        .address_space:  global
        .offset:         112
        .size:           8
        .value_kind:     global_buffer
      - .offset:         120
        .size:           1
        .value_kind:     by_value
      - .address_space:  global
        .offset:         128
        .size:           8
        .value_kind:     global_buffer
      - .offset:         136
        .size:           4
        .value_kind:     hidden_block_count_x
      - .offset:         140
        .size:           4
        .value_kind:     hidden_block_count_y
      - .offset:         144
        .size:           4
        .value_kind:     hidden_block_count_z
      - .offset:         148
        .size:           2
        .value_kind:     hidden_group_size_x
      - .offset:         150
        .size:           2
        .value_kind:     hidden_group_size_y
      - .offset:         152
        .size:           2
        .value_kind:     hidden_group_size_z
      - .offset:         154
        .size:           2
        .value_kind:     hidden_remainder_x
      - .offset:         156
        .size:           2
        .value_kind:     hidden_remainder_y
      - .offset:         158
        .size:           2
        .value_kind:     hidden_remainder_z
      - .offset:         176
        .size:           8
        .value_kind:     hidden_global_offset_x
      - .offset:         184
        .size:           8
        .value_kind:     hidden_global_offset_y
      - .offset:         192
        .size:           8
        .value_kind:     hidden_global_offset_z
      - .offset:         200
        .size:           2
        .value_kind:     hidden_grid_dims
    .group_segment_fixed_size: 0
    .kernarg_segment_align: 8
    .kernarg_segment_size: 392
    .language:       OpenCL C
    .language_version:
      - 2
      - 0
    .max_flat_workgroup_size: 1024
    .name:           _Z6kalmanILi8EEvPKdiS1_S1_S1_S1_S1_bS1_iPdS2_S2_iiS2_bS2_
    .private_segment_fixed_size: 2596
    .sgpr_count:     30
    .sgpr_spill_count: 0
    .symbol:         _Z6kalmanILi8EEvPKdiS1_S1_S1_S1_S1_bS1_iPdS2_S2_iiS2_bS2_.kd
    .uniform_work_group_size: 1
    .uses_dynamic_stack: false
    .vgpr_count:     128
    .vgpr_spill_count: 1454
    .wavefront_size: 64
amdhsa.target:   amdgcn-amd-amdhsa--gfx950
amdhsa.version:
  - 1
  - 2
...

	.end_amdgpu_metadata
